;; amdgpu-corpus repo=ROCm/rocFFT kind=compiled arch=gfx1100 opt=O3
	.text
	.amdgcn_target "amdgcn-amd-amdhsa--gfx1100"
	.amdhsa_code_object_version 6
	.protected	bluestein_single_fwd_len1188_dim1_dp_op_CI_CI ; -- Begin function bluestein_single_fwd_len1188_dim1_dp_op_CI_CI
	.globl	bluestein_single_fwd_len1188_dim1_dp_op_CI_CI
	.p2align	8
	.type	bluestein_single_fwd_len1188_dim1_dp_op_CI_CI,@function
bluestein_single_fwd_len1188_dim1_dp_op_CI_CI: ; @bluestein_single_fwd_len1188_dim1_dp_op_CI_CI
; %bb.0:
	s_load_b128 s[16:19], s[0:1], 0x28
	v_mul_u32_u24_e32 v1, 0x3e1, v0
	s_mov_b32 s2, exec_lo
	s_delay_alu instid0(VALU_DEP_1) | instskip(NEXT) | instid1(VALU_DEP_1)
	v_lshrrev_b32_e32 v1, 16, v1
	v_mad_u64_u32 v[96:97], null, s15, 3, v[1:2]
	v_mov_b32_e32 v97, 0
                                        ; kill: def $vgpr2 killed $sgpr0 killed $exec
	s_waitcnt lgkmcnt(0)
	s_delay_alu instid0(VALU_DEP_1)
	v_cmpx_gt_u64_e64 s[16:17], v[96:97]
	s_cbranch_execz .LBB0_10
; %bb.1:
	s_clause 0x1
	s_load_b128 s[4:7], s[0:1], 0x18
	s_load_b128 s[8:11], s[0:1], 0x0
	v_mul_lo_u16 v1, 0x42, v1
	v_mul_hi_u32 v73, 0xaaaaaaab, v96
	s_delay_alu instid0(VALU_DEP_2) | instskip(NEXT) | instid1(VALU_DEP_2)
	v_sub_nc_u16 v32, v0, v1
	v_lshrrev_b32_e32 v95, 1, v73
	s_delay_alu instid0(VALU_DEP_2) | instskip(NEXT) | instid1(VALU_DEP_2)
	v_and_b32_e32 v219, 0xffff, v32
	v_lshl_add_u32 v95, v95, 1, v95
	s_delay_alu instid0(VALU_DEP_2)
	v_lshlrev_b32_e32 v220, 4, v219
	s_waitcnt lgkmcnt(0)
	s_load_b128 s[12:15], s[4:5], 0x0
	s_clause 0x1
	global_load_b128 v[147:150], v220, s[8:9]
	global_load_b128 v[151:154], v220, s[8:9] offset:1056
	v_add_co_u32 v10, s2, s8, v220
	s_clause 0x1
	global_load_b128 v[155:158], v220, s[8:9] offset:3168
	global_load_b128 v[159:162], v220, s[8:9] offset:2112
	v_add_co_ci_u32_e64 v11, null, s9, 0, s2
	s_waitcnt lgkmcnt(0)
	v_mad_u64_u32 v[0:1], null, s14, v96, 0
	v_mad_u64_u32 v[2:3], null, s12, v219, 0
	s_mul_i32 s3, s13, 0xc60
	s_mul_hi_u32 s4, s12, 0xc60
	s_mul_i32 s2, s12, 0xc60
	s_add_i32 s3, s4, s3
	s_mul_i32 s4, s13, 0xffffc640
	s_delay_alu instid0(VALU_DEP_1) | instskip(SKIP_1) | instid1(VALU_DEP_1)
	v_mad_u64_u32 v[4:5], null, s15, v96, v[1:2]
	s_sub_i32 s4, s4, s12
	v_mad_u64_u32 v[5:6], null, s13, v219, v[3:4]
	v_mov_b32_e32 v1, v4
	s_delay_alu instid0(VALU_DEP_1) | instskip(NEXT) | instid1(VALU_DEP_3)
	v_lshlrev_b64 v[0:1], 4, v[0:1]
	v_mov_b32_e32 v3, v5
	s_delay_alu instid0(VALU_DEP_2) | instskip(NEXT) | instid1(VALU_DEP_2)
	v_add_co_u32 v0, vcc_lo, s18, v0
	v_lshlrev_b64 v[2:3], 4, v[2:3]
	s_delay_alu instid0(VALU_DEP_4) | instskip(NEXT) | instid1(VALU_DEP_2)
	v_add_co_ci_u32_e32 v1, vcc_lo, s19, v1, vcc_lo
	v_add_co_u32 v0, vcc_lo, v0, v2
	s_delay_alu instid0(VALU_DEP_2) | instskip(NEXT) | instid1(VALU_DEP_2)
	v_add_co_ci_u32_e32 v1, vcc_lo, v1, v3, vcc_lo
	v_add_co_u32 v4, vcc_lo, v0, s2
	s_delay_alu instid0(VALU_DEP_2) | instskip(NEXT) | instid1(VALU_DEP_2)
	;; [unrolled: 3-line block ×3, first 2 shown]
	v_add_co_ci_u32_e32 v9, vcc_lo, s3, v5, vcc_lo
	v_add_co_u32 v12, vcc_lo, v8, s2
	s_delay_alu instid0(VALU_DEP_2) | instskip(SKIP_2) | instid1(VALU_DEP_4)
	v_add_co_ci_u32_e32 v13, vcc_lo, s3, v9, vcc_lo
	v_add_co_u32 v2, vcc_lo, 0x1000, v10
	v_add_co_ci_u32_e32 v3, vcc_lo, 0, v11, vcc_lo
	v_add_co_u32 v16, vcc_lo, v12, s2
	s_delay_alu instid0(VALU_DEP_4) | instskip(SKIP_2) | instid1(VALU_DEP_4)
	v_add_co_ci_u32_e32 v17, vcc_lo, s3, v13, vcc_lo
	v_add_co_u32 v6, vcc_lo, 0x2000, v10
	v_add_co_ci_u32_e32 v7, vcc_lo, 0, v11, vcc_lo
	v_add_co_u32 v20, vcc_lo, v16, s2
	s_delay_alu instid0(VALU_DEP_4) | instskip(SKIP_2) | instid1(VALU_DEP_3)
	v_add_co_ci_u32_e32 v21, vcc_lo, s3, v17, vcc_lo
	v_add_co_u32 v65, vcc_lo, 0x3000, v10
	v_add_co_ci_u32_e32 v66, vcc_lo, 0, v11, vcc_lo
	v_mad_u64_u32 v[24:25], null, 0xffffc640, s12, v[20:21]
	v_add_co_u32 v69, vcc_lo, 0x4000, v10
	v_add_co_ci_u32_e32 v70, vcc_lo, 0, v11, vcc_lo
	s_clause 0x2
	global_load_b128 v[175:178], v[65:66], off offset:3552
	global_load_b128 v[183:186], v[2:3], off offset:2240
	;; [unrolled: 1-line block ×3, first 2 shown]
	v_add_nc_u32_e32 v25, s4, v25
	v_add_co_u32 v28, vcc_lo, v24, s2
	s_clause 0x2
	global_load_b128 v[179:182], v[65:66], off offset:384
	global_load_b128 v[163:166], v[65:66], off offset:1440
	;; [unrolled: 1-line block ×3, first 2 shown]
	v_add_co_ci_u32_e32 v29, vcc_lo, s3, v25, vcc_lo
	v_add_co_u32 v33, vcc_lo, v28, s2
	s_clause 0x1
	global_load_b128 v[187:190], v[2:3], off offset:128
	global_load_b128 v[191:194], v[2:3], off offset:1184
	v_add_co_ci_u32_e32 v34, vcc_lo, s3, v29, vcc_lo
	v_add_co_u32 v37, vcc_lo, v33, s2
	s_clause 0x1
	global_load_b128 v[195:198], v[6:7], off offset:1312
	global_load_b128 v[199:202], v[6:7], off offset:256
	;; [unrolled: 5-line block ×3, first 2 shown]
	v_add_co_ci_u32_e32 v42, vcc_lo, s3, v38, vcc_lo
	v_add_co_u32 v45, vcc_lo, v41, s2
	s_clause 0x2
	global_load_b128 v[0:3], v[0:1], off
	global_load_b128 v[4:7], v[4:5], off
	;; [unrolled: 1-line block ×3, first 2 shown]
	v_add_co_ci_u32_e32 v46, vcc_lo, s3, v42, vcc_lo
	s_clause 0x1
	global_load_b128 v[12:15], v[12:13], off
	global_load_b128 v[16:19], v[16:17], off
	global_load_b128 v[20:23], v[20:21], off
	global_load_b128 v[24:27], v[24:25], off
	global_load_b128 v[28:31], v[28:29], off
	global_load_b128 v[33:36], v[33:34], off
	global_load_b128 v[37:40], v[37:38], off
	global_load_b128 v[41:44], v[41:42], off
	v_mad_u64_u32 v[49:50], null, 0xffffc640, s12, v[45:46]
	global_load_b128 v[45:48], v[45:46], off
	s_mov_b32 s12, 0xe8584caa
	s_mov_b32 s13, 0x3febb67a
	v_add_nc_u32_e32 v50, s4, v50
	v_add_co_u32 v53, vcc_lo, v49, s2
	s_delay_alu instid0(VALU_DEP_2) | instskip(NEXT) | instid1(VALU_DEP_2)
	v_add_co_ci_u32_e32 v54, vcc_lo, s3, v50, vcc_lo
	v_add_co_u32 v57, vcc_lo, v53, s2
	global_load_b128 v[49:52], v[49:50], off
	v_add_co_ci_u32_e32 v58, vcc_lo, s3, v54, vcc_lo
	v_add_co_u32 v61, vcc_lo, v57, s2
	global_load_b128 v[53:56], v[53:54], off
	;; [unrolled: 3-line block ×3, first 2 shown]
	v_add_co_ci_u32_e32 v68, vcc_lo, s3, v62, vcc_lo
	v_add_co_u32 v71, vcc_lo, v67, s2
	s_mov_b32 s2, s12
	s_delay_alu instid0(VALU_DEP_2)
	v_add_co_ci_u32_e32 v72, vcc_lo, s3, v68, vcc_lo
	global_load_b128 v[61:64], v[61:62], off
	global_load_b128 v[211:214], v[65:66], off offset:2496
	global_load_b128 v[65:68], v[67:68], off
	global_load_b128 v[215:218], v[69:70], off offset:1568
	global_load_b128 v[69:72], v[71:72], off
	s_load_b128 s[4:7], s[6:7], 0x0
	s_mov_b32 s3, 0xbfebb67a
	v_cmp_gt_u16_e32 vcc_lo, 42, v32
	scratch_store_b32 off, v220, off offset:456 ; 4-byte Folded Spill
	s_waitcnt vmcnt(35)
	scratch_store_b128 off, v[147:150], off offset:64 ; 16-byte Folded Spill
	s_waitcnt vmcnt(34)
	scratch_store_b128 off, v[151:154], off offset:80 ; 16-byte Folded Spill
	;; [unrolled: 2-line block ×4, first 2 shown]
	s_waitcnt vmcnt(30)
	s_clause 0x1
	scratch_store_b128 off, v[183:186], off offset:208
	scratch_store_b128 off, v[175:178], off offset:176
	s_waitcnt vmcnt(29)
	scratch_store_b128 off, v[167:170], off offset:144 ; 16-byte Folded Spill
	s_waitcnt vmcnt(28)
	scratch_store_b128 off, v[179:182], off offset:192 ; 16-byte Folded Spill
	;; [unrolled: 2-line block ×10, first 2 shown]
	s_waitcnt vmcnt(16)
	v_mul_f64 v[85:86], v[14:15], v[197:198]
	v_mul_f64 v[73:74], v[2:3], v[149:150]
	v_mul_f64 v[75:76], v[0:1], v[149:150]
	s_waitcnt vmcnt(13)
	v_mul_f64 v[99:100], v[26:27], v[153:154]
	v_mul_f64 v[101:102], v[24:25], v[153:154]
	v_mul_f64 v[81:82], v[10:11], v[185:186]
	v_mul_f64 v[83:84], v[8:9], v[185:186]
	s_waitcnt vmcnt(11)
	v_mul_f64 v[107:108], v[35:36], v[169:170]
	;; [unrolled: 5-line block ×3, first 2 shown]
	v_mul_f64 v[117:118], v[41:42], v[165:166]
	v_mul_f64 v[77:78], v[6:7], v[157:158]
	;; [unrolled: 1-line block ×10, first 2 shown]
	s_waitcnt vmcnt(8)
	v_mul_f64 v[119:120], v[47:48], v[173:174]
	v_mul_f64 v[121:122], v[45:46], v[173:174]
	s_waitcnt vmcnt(7)
	v_mul_f64 v[123:124], v[51:52], v[161:162]
	v_mul_f64 v[125:126], v[49:50], v[161:162]
	;; [unrolled: 3-line block ×4, first 2 shown]
	v_fma_f64 v[12:13], v[12:13], v[195:196], v[85:86]
	v_fma_f64 v[0:1], v[0:1], v[147:148], v[73:74]
	s_waitcnt vmcnt(4)
	v_mul_f64 v[135:136], v[63:64], v[209:210]
	v_mul_f64 v[137:138], v[61:62], v[209:210]
	s_waitcnt vmcnt(2)
	v_mul_f64 v[139:140], v[67:68], v[213:214]
	v_mul_f64 v[141:142], v[65:66], v[213:214]
	;; [unrolled: 3-line block ×3, first 2 shown]
	v_fma_f64 v[2:3], v[2:3], v[147:148], -v[75:76]
	v_fma_f64 v[24:25], v[24:25], v[151:152], v[99:100]
	v_fma_f64 v[26:27], v[26:27], v[151:152], -v[101:102]
	v_fma_f64 v[8:9], v[8:9], v[183:184], v[81:82]
	;; [unrolled: 2-line block ×7, first 2 shown]
	v_fma_f64 v[30:31], v[30:31], v[187:188], -v[105:106]
	v_fma_f64 v[14:15], v[14:15], v[195:196], -v[87:88]
	v_fma_f64 v[37:38], v[37:38], v[203:204], v[111:112]
	v_fma_f64 v[39:40], v[39:40], v[203:204], -v[113:114]
	v_fma_f64 v[49:50], v[49:50], v[159:160], v[123:124]
	;; [unrolled: 2-line block ×4, first 2 shown]
	v_fma_f64 v[53:54], v[53:54], v[191:192], v[127:128]
	v_fma_f64 v[55:56], v[55:56], v[191:192], -v[129:130]
	v_fma_f64 v[47:48], v[47:48], v[171:172], -v[121:122]
	v_sub_nc_u32_e32 v73, v96, v95
	s_clause 0x1
	scratch_store_b128 off, v[211:214], off offset:320
	scratch_store_b128 off, v[215:218], off offset:336
	v_fma_f64 v[57:58], v[57:58], v[199:200], v[131:132]
	v_fma_f64 v[59:60], v[59:60], v[199:200], -v[133:134]
	v_mul_u32_u24_e32 v73, 0x4a4, v73
	v_fma_f64 v[61:62], v[61:62], v[207:208], v[135:136]
	v_fma_f64 v[63:64], v[63:64], v[207:208], -v[137:138]
	v_fma_f64 v[65:66], v[65:66], v[211:212], v[139:140]
	v_fma_f64 v[67:68], v[67:68], v[211:212], -v[141:142]
	;; [unrolled: 2-line block ×3, first 2 shown]
	v_lshlrev_b32_e32 v95, 4, v73
	scratch_store_b32 off, v73, off offset:648 ; 4-byte Folded Spill
	v_add_nc_u32_e32 v107, v220, v95
	ds_store_b128 v107, v[0:3]
	ds_store_b128 v107, v[24:27] offset:1056
	ds_store_b128 v107, v[8:11] offset:6336
	;; [unrolled: 1-line block ×17, first 2 shown]
	s_waitcnt lgkmcnt(0)
	s_waitcnt_vscnt null, 0x0
	s_barrier
	buffer_gl0_inv
	ds_load_b128 v[0:3], v107 offset:9504
	ds_load_b128 v[4:7], v107 offset:15840
	;; [unrolled: 1-line block ×12, first 2 shown]
	s_waitcnt lgkmcnt(10)
	v_add_f64 v[49:50], v[0:1], v[4:5]
	v_add_f64 v[51:52], v[2:3], v[6:7]
	s_waitcnt lgkmcnt(8)
	v_add_f64 v[53:54], v[14:15], v[10:11]
	v_add_f64 v[55:56], v[12:13], v[8:9]
	;; [unrolled: 3-line block ×3, first 2 shown]
	v_add_f64 v[69:70], v[2:3], -v[6:7]
	v_add_f64 v[71:72], v[0:1], -v[4:5]
	;; [unrolled: 1-line block ×6, first 2 shown]
	s_waitcnt lgkmcnt(3)
	v_add_f64 v[0:1], v[33:34], v[0:1]
	v_add_f64 v[2:3], v[35:36], v[2:3]
	s_waitcnt lgkmcnt(2)
	v_add_f64 v[12:13], v[37:38], v[12:13]
	v_add_f64 v[14:15], v[39:40], v[14:15]
	;; [unrolled: 3-line block ×3, first 2 shown]
	v_fma_f64 v[73:74], v[49:50], -0.5, v[33:34]
	v_fma_f64 v[75:76], v[51:52], -0.5, v[35:36]
	;; [unrolled: 1-line block ×6, first 2 shown]
	ds_load_b128 v[49:52], v107 offset:12672
	ds_load_b128 v[53:56], v107 offset:6336
	;; [unrolled: 1-line block ×4, first 2 shown]
	ds_load_b128 v[65:68], v107
	v_add_f64 v[37:38], v[41:42], v[24:25]
	v_add_f64 v[39:40], v[43:44], v[26:27]
	;; [unrolled: 1-line block ×8, first 2 shown]
	scratch_store_b32 off, v95, off offset:700 ; 4-byte Folded Spill
	s_waitcnt lgkmcnt(3)
	v_add_f64 v[93:94], v[53:54], v[49:50]
	v_add_f64 v[97:98], v[55:56], v[51:52]
	s_waitcnt lgkmcnt(1)
	v_add_f64 v[103:104], v[57:58], v[61:62]
	v_add_f64 v[105:106], v[59:60], v[63:64]
	v_add_f64 v[47:48], v[53:54], -v[49:50]
	v_fma_f64 v[99:100], v[69:70], s[2:3], v[73:74]
	v_fma_f64 v[101:102], v[71:72], s[2:3], v[75:76]
	;; [unrolled: 1-line block ×4, first 2 shown]
	ds_load_b128 v[69:72], v107 offset:1056
	v_fma_f64 v[108:109], v[79:80], s[2:3], v[81:82]
	v_fma_f64 v[110:111], v[77:78], s[2:3], v[83:84]
	;; [unrolled: 1-line block ×4, first 2 shown]
	v_add_f64 v[81:82], v[24:25], v[28:29]
	v_add_f64 v[83:84], v[26:27], v[30:31]
	v_fma_f64 v[112:113], v[87:88], s[2:3], v[89:90]
	v_fma_f64 v[114:115], v[85:86], s[2:3], v[91:92]
	;; [unrolled: 1-line block ×4, first 2 shown]
	s_waitcnt lgkmcnt(1)
	v_add_f64 v[89:90], v[65:66], v[53:54]
	v_add_f64 v[91:92], v[55:56], -v[51:52]
	v_add_f64 v[55:56], v[67:68], v[55:56]
	v_add_f64 v[26:27], v[26:27], -v[30:31]
	v_add_f64 v[24:25], v[24:25], -v[28:29]
	v_add_f64 v[12:13], v[37:38], v[28:29]
	v_add_f64 v[14:15], v[39:40], v[30:31]
	s_waitcnt lgkmcnt(0)
	v_add_f64 v[33:34], v[69:70], v[57:58]
	v_add_f64 v[35:36], v[71:72], v[59:60]
	v_add_f64 v[59:60], v[59:60], -v[63:64]
	v_fma_f64 v[45:46], v[93:94], -0.5, v[65:66]
	v_fma_f64 v[53:54], v[97:98], -0.5, v[67:68]
	;; [unrolled: 1-line block ×3, first 2 shown]
	v_add_f64 v[57:58], v[57:58], -v[61:62]
	v_fma_f64 v[71:72], v[105:106], -0.5, v[71:72]
	v_mul_f64 v[67:68], v[99:100], -0.5
	v_mul_f64 v[65:66], v[101:102], s[12:13]
	v_mul_f64 v[93:94], v[73:74], s[2:3]
	v_mul_f64 v[97:98], v[75:76], -0.5
	v_mul_f64 v[103:104], v[108:109], s[12:13]
	v_mul_f64 v[105:106], v[110:111], -0.5
	;; [unrolled: 2-line block ×3, first 2 shown]
	v_fma_f64 v[41:42], v[81:82], -0.5, v[41:42]
	v_fma_f64 v[43:44], v[83:84], -0.5, v[43:44]
	v_mul_f64 v[81:82], v[112:113], s[12:13]
	v_mul_f64 v[83:84], v[114:115], -0.5
	v_mul_f64 v[122:123], v[87:88], -0.5
	v_mul_f64 v[120:121], v[85:86], s[2:3]
	v_add_f64 v[49:50], v[89:90], v[49:50]
	v_add_f64 v[51:52], v[55:56], v[51:52]
	;; [unrolled: 1-line block ×4, first 2 shown]
	v_fma_f64 v[20:21], v[91:92], s[12:13], v[45:46]
	v_fma_f64 v[22:23], v[91:92], s[2:3], v[45:46]
	;; [unrolled: 1-line block ×7, first 2 shown]
	v_fma_f64 v[53:54], v[73:74], 0.5, v[65:66]
	v_fma_f64 v[65:66], v[101:102], 0.5, v[93:94]
	v_fma_f64 v[67:68], v[99:100], s[2:3], v[97:98]
	v_fma_f64 v[75:76], v[59:60], s[2:3], v[69:70]
	;; [unrolled: 1-line block ×4, first 2 shown]
	v_fma_f64 v[69:70], v[77:78], 0.5, v[103:104]
	v_fma_f64 v[79:80], v[110:111], s[2:3], v[118:119]
	v_fma_f64 v[93:94], v[26:27], s[12:13], v[41:42]
	;; [unrolled: 1-line block ×5, first 2 shown]
	v_fma_f64 v[24:25], v[85:86], 0.5, v[81:82]
	v_fma_f64 v[81:82], v[87:88], s[12:13], v[83:84]
	v_fma_f64 v[85:86], v[114:115], s[2:3], v[122:123]
	v_fma_f64 v[77:78], v[108:109], 0.5, v[116:117]
	v_fma_f64 v[83:84], v[112:113], 0.5, v[120:121]
	v_add_f64 v[4:5], v[49:50], v[0:1]
	v_add_f64 v[6:7], v[51:52], v[2:3]
	v_add_f64 v[33:34], v[49:50], -v[0:1]
	v_add_f64 v[35:36], v[51:52], -v[2:3]
	s_load_b64 s[2:3], s[0:1], 0x38
	v_add_f64 v[37:38], v[55:56], v[8:9]
	v_add_f64 v[41:42], v[55:56], -v[8:9]
	v_add_f64 v[39:40], v[61:62], v[10:11]
	v_add_f64 v[43:44], v[61:62], -v[10:11]
	v_add_f64 v[8:9], v[12:13], v[16:17]
	v_add_f64 v[10:11], v[14:15], v[18:19]
	v_add_f64 v[12:13], v[12:13], -v[16:17]
	v_add_f64 v[14:15], v[14:15], -v[18:19]
	;; [unrolled: 1-line block ×3, first 2 shown]
	v_add_f64 v[45:46], v[20:21], v[53:54]
	v_add_f64 v[47:48], v[28:29], v[65:66]
	;; [unrolled: 1-line block ×3, first 2 shown]
	v_add_f64 v[55:56], v[28:29], -v[65:66]
	v_add_f64 v[59:60], v[30:31], -v[67:68]
	;; [unrolled: 1-line block ×3, first 2 shown]
	v_add_f64 v[49:50], v[22:23], v[63:64]
	v_add_f64 v[2:3], v[91:92], -v[79:80]
	v_add_f64 v[53:54], v[20:21], -v[53:54]
	v_add_f64 v[61:62], v[73:74], v[69:70]
	v_add_f64 v[65:66], v[75:76], v[71:72]
	;; [unrolled: 1-line block ×4, first 2 shown]
	v_add_f64 v[28:29], v[26:27], -v[81:82]
	v_add_f64 v[30:31], v[99:100], -v[85:86]
	v_add_f64 v[63:64], v[89:90], v[77:78]
	v_add_f64 v[22:23], v[97:98], v[83:84]
	;; [unrolled: 1-line block ×4, first 2 shown]
	v_add_f64 v[69:70], v[73:74], -v[69:70]
	v_add_f64 v[71:72], v[89:90], -v[77:78]
	v_add_f64 v[24:25], v[93:94], -v[24:25]
	v_add_f64 v[26:27], v[97:98], -v[83:84]
	v_mul_lo_u16 v73, v32, 6
	v_add_co_u32 v99, null, 0x42, v219
	v_add_co_u32 v75, null, 0x84, v219
	s_delay_alu instid0(VALU_DEP_3) | instskip(NEXT) | instid1(VALU_DEP_3)
	v_and_b32_e32 v73, 0xffff, v73
	v_mul_u32_u24_e32 v74, 6, v99
	scratch_store_b32 off, v75, off offset:584 ; 4-byte Folded Spill
	v_mul_u32_u24_e32 v75, 6, v75
	v_lshl_add_u32 v76, v73, 4, v95
	v_lshl_add_u32 v74, v74, 4, v95
	s_waitcnt lgkmcnt(0)
	s_waitcnt_vscnt null, 0x0
	s_barrier
	v_lshl_add_u32 v73, v75, 4, v95
	buffer_gl0_inv
	ds_store_b128 v76, v[4:7]
	ds_store_b128 v76, v[45:48] offset:16
	ds_store_b128 v76, v[49:52] offset:32
	ds_store_b128 v76, v[33:36] offset:48
	ds_store_b128 v76, v[53:56] offset:64
	scratch_store_b32 off, v76, off offset:420 ; 4-byte Folded Spill
	ds_store_b128 v76, v[57:60] offset:80
	ds_store_b128 v74, v[37:40]
	ds_store_b128 v74, v[61:64] offset:16
	ds_store_b128 v74, v[65:68] offset:32
	ds_store_b128 v74, v[41:44] offset:48
	ds_store_b128 v74, v[69:72] offset:64
	scratch_store_b32 off, v74, off offset:384 ; 4-byte Folded Spill
	ds_store_b128 v74, v[0:3] offset:80
	;; [unrolled: 7-line block ×3, first 2 shown]
	s_waitcnt lgkmcnt(0)
	s_waitcnt_vscnt null, 0x0
	s_barrier
	buffer_gl0_inv
	ds_load_b128 v[4:7], v107
	ds_load_b128 v[92:95], v107 offset:1728
	ds_load_b128 v[56:59], v107 offset:3456
	ds_load_b128 v[84:87], v107 offset:5184
	ds_load_b128 v[76:79], v107 offset:6912
	ds_load_b128 v[72:75], v107 offset:8640
	ds_load_b128 v[52:55], v107 offset:10368
	ds_load_b128 v[36:39], v107 offset:12096
	ds_load_b128 v[80:83], v107 offset:13824
	ds_load_b128 v[60:63], v107 offset:15552
	ds_load_b128 v[88:91], v107 offset:17280
                                        ; implicit-def: $vgpr40_vgpr41
                                        ; implicit-def: $vgpr44_vgpr45
                                        ; implicit-def: $vgpr48_vgpr49
                                        ; implicit-def: $vgpr32_vgpr33
	s_and_saveexec_b32 s0, vcc_lo
	s_cbranch_execz .LBB0_3
; %bb.2:
	ds_load_b128 v[0:3], v107 offset:1056
	ds_load_b128 v[8:11], v107 offset:2784
	;; [unrolled: 1-line block ×11, first 2 shown]
.LBB0_3:
	s_or_b32 exec_lo, exec_lo, s0
	v_and_b32_e32 v64, 0xff, v219
	s_mov_b32 s26, 0xf8bb580b
	s_mov_b32 s24, 0x8eee2c13
	;; [unrolled: 1-line block ×4, first 2 shown]
	v_mul_lo_u16 v64, 0xab, v64
	s_mov_b32 s28, 0xfd768dbf
	s_mov_b32 s27, 0xbfe14ced
	;; [unrolled: 1-line block ×4, first 2 shown]
	v_lshrrev_b16 v64, 10, v64
	s_mov_b32 s23, 0xbfe82f19
	s_mov_b32 s29, 0xbfd207e7
	;; [unrolled: 1-line block ×4, first 2 shown]
	s_clause 0x1
	scratch_store_b32 off, v64, off offset:360
	scratch_store_b32 off, v219, off offset:352
	v_mul_lo_u16 v64, v64, 6
	s_mov_b32 s0, 0x640f44db
	s_mov_b32 s18, 0x7f775887
	s_mov_b32 s12, 0x9bcd5057
	s_mov_b32 s21, 0x3feaeb8c
	v_sub_nc_u16 v64, v219, v64
	s_mov_b32 s17, 0x3fda9628
	s_mov_b32 s1, 0xbfc2375f
	;; [unrolled: 1-line block ×4, first 2 shown]
	v_and_b32_e32 v110, 0xff, v64
	s_mov_b32 s39, 0x3fd207e7
	s_mov_b32 s38, s28
	;; [unrolled: 1-line block ×4, first 2 shown]
	v_mul_u32_u24_e32 v64, 10, v110
	s_mov_b32 s31, 0x3fe14ced
	s_mov_b32 s30, s26
	;; [unrolled: 1-line block ×4, first 2 shown]
	v_lshlrev_b32_e32 v64, 4, v64
	s_clause 0x1
	global_load_b128 v[67:70], v64, s[10:11]
	global_load_b128 v[132:135], v64, s[10:11] offset:16
	s_waitcnt vmcnt(1) lgkmcnt(9)
	v_mul_f64 v[65:66], v[92:93], v[69:70]
	scratch_store_b128 off, v[67:70], off offset:368 ; 16-byte Folded Spill
	v_fma_f64 v[182:183], v[94:95], v[67:68], v[65:66]
	v_mul_f64 v[65:66], v[94:95], v[69:70]
	s_delay_alu instid0(VALU_DEP_2) | instskip(NEXT) | instid1(VALU_DEP_2)
	v_add_f64 v[196:197], v[6:7], v[182:183]
	v_fma_f64 v[184:185], v[92:93], v[67:68], -v[65:66]
	s_clause 0x1
	global_load_b128 v[67:70], v64, s[10:11] offset:144
	global_load_b128 v[136:139], v64, s[10:11] offset:128
	v_add_f64 v[194:195], v[4:5], v[184:185]
	s_waitcnt vmcnt(1)
	scratch_store_b128 off, v[67:70], off offset:424 ; 16-byte Folded Spill
	s_waitcnt lgkmcnt(0)
	v_mul_f64 v[65:66], v[88:89], v[69:70]
	s_clause 0x3
	global_load_b128 v[140:143], v64, s[10:11] offset:32
	global_load_b128 v[148:151], v64, s[10:11] offset:48
	global_load_b128 v[160:163], v64, s[10:11] offset:112
	global_load_b128 v[156:159], v64, s[10:11] offset:96
	v_fma_f64 v[97:98], v[90:91], v[67:68], v[65:66]
	v_mul_f64 v[65:66], v[90:91], v[69:70]
	s_delay_alu instid0(VALU_DEP_1) | instskip(SKIP_1) | instid1(VALU_DEP_1)
	v_fma_f64 v[116:117], v[88:89], v[67:68], -v[65:66]
	v_mul_f64 v[65:66], v[56:57], v[134:135]
	v_fma_f64 v[146:147], v[58:59], v[132:133], v[65:66]
	v_mul_f64 v[58:59], v[58:59], v[134:135]
	s_delay_alu instid0(VALU_DEP_1) | instskip(SKIP_2) | instid1(VALU_DEP_1)
	v_fma_f64 v[152:153], v[56:57], v[132:133], -v[58:59]
	s_waitcnt vmcnt(4)
	v_mul_f64 v[56:57], v[60:61], v[138:139]
	v_fma_f64 v[118:119], v[62:63], v[136:137], v[56:57]
	v_mul_f64 v[56:57], v[62:63], v[138:139]
	s_delay_alu instid0(VALU_DEP_2) | instskip(NEXT) | instid1(VALU_DEP_2)
	v_add_f64 v[88:89], v[146:147], -v[118:119]
	v_fma_f64 v[144:145], v[60:61], v[136:137], -v[56:57]
	s_clause 0x1
	global_load_b128 v[65:68], v64, s[10:11] offset:64
	global_load_b128 v[58:61], v64, s[10:11] offset:80
	scratch_store_b32 off, v99, off offset:492 ; 4-byte Folded Spill
	v_add_f64 v[90:91], v[152:153], -v[144:145]
	s_waitcnt vmcnt(5)
	v_mul_f64 v[56:57], v[84:85], v[142:143]
	s_delay_alu instid0(VALU_DEP_1) | instskip(SKIP_1) | instid1(VALU_DEP_1)
	v_fma_f64 v[154:155], v[86:87], v[140:141], v[56:57]
	v_mul_f64 v[56:57], v[86:87], v[142:143]
	v_fma_f64 v[164:165], v[84:85], v[140:141], -v[56:57]
	s_waitcnt vmcnt(3)
	v_mul_f64 v[56:57], v[80:81], v[162:163]
	s_delay_alu instid0(VALU_DEP_1) | instskip(SKIP_1) | instid1(VALU_DEP_2)
	v_fma_f64 v[166:167], v[82:83], v[160:161], v[56:57]
	v_mul_f64 v[56:57], v[82:83], v[162:163]
	v_add_f64 v[82:83], v[154:155], v[166:167]
	s_delay_alu instid0(VALU_DEP_2) | instskip(SKIP_1) | instid1(VALU_DEP_2)
	v_fma_f64 v[168:169], v[80:81], v[160:161], -v[56:57]
	v_mul_f64 v[56:57], v[78:79], v[150:151]
	v_add_f64 v[80:81], v[164:165], v[168:169]
	s_delay_alu instid0(VALU_DEP_2)
	v_fma_f64 v[170:171], v[76:77], v[148:149], -v[56:57]
	v_mul_f64 v[56:57], v[76:77], v[150:151]
	s_waitcnt vmcnt(1)
	scratch_store_b128 off, v[65:68], off offset:404 ; 16-byte Folded Spill
	v_fma_f64 v[76:77], v[78:79], v[148:149], v[56:57]
	v_mul_f64 v[56:57], v[74:75], v[67:68]
	s_delay_alu instid0(VALU_DEP_1) | instskip(SKIP_1) | instid1(VALU_DEP_1)
	v_fma_f64 v[78:79], v[72:73], v[65:66], -v[56:57]
	v_mul_f64 v[56:57], v[72:73], v[67:68]
	v_fma_f64 v[172:173], v[74:75], v[65:66], v[56:57]
	s_waitcnt vmcnt(0)
	v_mul_f64 v[56:57], v[54:55], v[60:61]
	s_delay_alu instid0(VALU_DEP_1) | instskip(SKIP_1) | instid1(VALU_DEP_2)
	v_fma_f64 v[174:175], v[52:53], v[58:59], -v[56:57]
	v_mul_f64 v[52:53], v[52:53], v[60:61]
	v_add_f64 v[126:127], v[78:79], v[174:175]
	s_delay_alu instid0(VALU_DEP_2) | instskip(SKIP_2) | instid1(VALU_DEP_3)
	v_fma_f64 v[176:177], v[54:55], v[58:59], v[52:53]
	v_mul_f64 v[52:53], v[36:37], v[158:159]
	v_add_f64 v[128:129], v[78:79], -v[174:175]
	v_add_f64 v[124:125], v[172:173], -v[176:177]
	s_delay_alu instid0(VALU_DEP_3) | instskip(SKIP_2) | instid1(VALU_DEP_3)
	v_fma_f64 v[178:179], v[38:39], v[156:157], v[52:53]
	v_mul_f64 v[38:39], v[38:39], v[158:159]
	v_add_f64 v[130:131], v[172:173], v[176:177]
	v_add_f64 v[112:113], v[76:77], -v[178:179]
	s_delay_alu instid0(VALU_DEP_3) | instskip(SKIP_2) | instid1(VALU_DEP_2)
	v_fma_f64 v[180:181], v[36:37], v[156:157], -v[38:39]
	v_and_b32_e32 v36, 0xff, v99
	v_add_f64 v[122:123], v[76:77], v[178:179]
	v_mul_lo_u16 v36, 0xab, v36
	s_delay_alu instid0(VALU_DEP_1) | instskip(NEXT) | instid1(VALU_DEP_1)
	v_lshrrev_b16 v111, 10, v36
	v_mul_lo_u16 v36, v111, 6
	s_delay_alu instid0(VALU_DEP_1) | instskip(NEXT) | instid1(VALU_DEP_1)
	v_sub_nc_u16 v36, v99, v36
	v_and_b32_e32 v36, 0xff, v36
	s_clause 0x1
	scratch_store_b128 off, v[58:61], off offset:388
	scratch_store_b32 off, v36, off offset:356
	v_mul_u32_u24_e32 v36, 10, v36
	s_delay_alu instid0(VALU_DEP_1)
	v_lshlrev_b32_e32 v38, 4, v36
	s_clause 0x1
	global_load_b128 v[56:59], v38, s[10:11]
	global_load_b128 v[52:55], v38, s[10:11] offset:16
	v_add_f64 v[114:115], v[170:171], v[180:181]
	v_add_f64 v[120:121], v[170:171], -v[180:181]
	s_waitcnt vmcnt(1)
	v_mul_f64 v[36:37], v[10:11], v[58:59]
	scratch_store_b128 off, v[56:59], off offset:752 ; 16-byte Folded Spill
	s_waitcnt vmcnt(0)
	scratch_store_b128 off, v[52:55], off offset:720 ; 16-byte Folded Spill
	v_fma_f64 v[72:73], v[8:9], v[56:57], -v[36:37]
	v_mul_f64 v[8:9], v[8:9], v[58:59]
	s_delay_alu instid0(VALU_DEP_1) | instskip(SKIP_1) | instid1(VALU_DEP_1)
	v_fma_f64 v[74:75], v[10:11], v[56:57], v[8:9]
	v_mul_f64 v[8:9], v[22:23], v[54:55]
	v_fma_f64 v[186:187], v[20:21], v[52:53], -v[8:9]
	v_mul_f64 v[8:9], v[20:21], v[54:55]
	s_delay_alu instid0(VALU_DEP_1)
	v_fma_f64 v[190:191], v[22:23], v[52:53], v[8:9]
	s_clause 0x1
	global_load_b128 v[20:23], v38, s[10:11] offset:32
	global_load_b128 v[52:55], v38, s[10:11] offset:48
	s_waitcnt vmcnt(1)
	v_mul_f64 v[8:9], v[18:19], v[22:23]
	scratch_store_b128 off, v[20:23], off offset:736 ; 16-byte Folded Spill
	s_waitcnt vmcnt(0)
	scratch_store_b128 off, v[52:55], off offset:768 ; 16-byte Folded Spill
	v_fma_f64 v[192:193], v[16:17], v[20:21], -v[8:9]
	v_mul_f64 v[8:9], v[16:17], v[22:23]
	s_delay_alu instid0(VALU_DEP_1) | instskip(SKIP_2) | instid1(VALU_DEP_2)
	v_fma_f64 v[56:57], v[18:19], v[20:21], v[8:9]
	v_mul_f64 v[8:9], v[14:15], v[54:55]
	v_add_f64 v[18:19], v[184:185], v[116:117]
	v_fma_f64 v[202:203], v[12:13], v[52:53], -v[8:9]
	v_mul_f64 v[8:9], v[12:13], v[54:55]
	s_delay_alu instid0(VALU_DEP_1)
	v_fma_f64 v[58:59], v[14:15], v[52:53], v[8:9]
	s_clause 0x1
	global_load_b128 v[10:13], v38, s[10:11] offset:64
	global_load_b128 v[14:17], v38, s[10:11] offset:80
	s_waitcnt vmcnt(1)
	v_mul_f64 v[8:9], v[26:27], v[12:13]
	scratch_store_b128 off, v[10:13], off offset:800 ; 16-byte Folded Spill
	s_waitcnt vmcnt(0)
	scratch_store_b128 off, v[14:17], off offset:848 ; 16-byte Folded Spill
	v_fma_f64 v[64:65], v[24:25], v[10:11], -v[8:9]
	v_mul_f64 v[8:9], v[24:25], v[12:13]
	s_delay_alu instid0(VALU_DEP_1) | instskip(SKIP_1) | instid1(VALU_DEP_1)
	v_fma_f64 v[68:69], v[26:27], v[10:11], v[8:9]
	v_mul_f64 v[8:9], v[30:31], v[16:17]
	v_fma_f64 v[66:67], v[28:29], v[14:15], -v[8:9]
	v_mul_f64 v[8:9], v[28:29], v[16:17]
	s_delay_alu instid0(VALU_DEP_2) | instskip(NEXT) | instid1(VALU_DEP_2)
	v_add_f64 v[216:217], v[64:65], -v[66:67]
	v_fma_f64 v[70:71], v[30:31], v[14:15], v[8:9]
	s_clause 0x1
	global_load_b128 v[14:17], v38, s[10:11] offset:96
	global_load_b128 v[10:13], v38, s[10:11] offset:112
	v_mul_f64 v[214:215], v[216:217], s[28:29]
	v_add_f64 v[234:235], v[68:69], -v[70:71]
	v_add_f64 v[212:213], v[68:69], v[70:71]
	v_mul_f64 v[250:251], v[216:217], s[30:31]
	s_delay_alu instid0(VALU_DEP_3)
	v_mul_f64 v[204:205], v[234:235], s[28:29]
	v_mul_f64 v[230:231], v[234:235], s[30:31]
	;; [unrolled: 1-line block ×3, first 2 shown]
	s_waitcnt vmcnt(1)
	v_mul_f64 v[8:9], v[42:43], v[16:17]
	scratch_store_b128 off, v[14:17], off offset:832 ; 16-byte Folded Spill
	s_waitcnt vmcnt(0)
	scratch_store_b128 off, v[10:13], off offset:784 ; 16-byte Folded Spill
	v_fma_f64 v[60:61], v[40:41], v[14:15], -v[8:9]
	v_mul_f64 v[8:9], v[40:41], v[16:17]
	v_add_f64 v[40:41], v[182:183], v[97:98]
	s_delay_alu instid0(VALU_DEP_3) | instskip(NEXT) | instid1(VALU_DEP_3)
	v_add_f64 v[210:211], v[202:203], -v[60:61]
	v_fma_f64 v[62:63], v[42:43], v[14:15], v[8:9]
	v_mul_f64 v[8:9], v[46:47], v[12:13]
	s_delay_alu instid0(VALU_DEP_3) | instskip(NEXT) | instid1(VALU_DEP_3)
	v_mul_f64 v[208:209], v[210:211], s[22:23]
	v_add_f64 v[220:221], v[58:59], -v[62:63]
	s_delay_alu instid0(VALU_DEP_3)
	v_fma_f64 v[198:199], v[44:45], v[10:11], -v[8:9]
	v_mul_f64 v[8:9], v[44:45], v[12:13]
	v_add_f64 v[206:207], v[58:59], v[62:63]
	v_mul_f64 v[248:249], v[210:211], s[36:37]
	v_mul_f64 v[254:255], v[210:211], s[26:27]
	;; [unrolled: 1-line block ×4, first 2 shown]
	v_fma_f64 v[108:109], v[46:47], v[10:11], v[8:9]
	s_clause 0x1
	global_load_b128 v[10:13], v38, s[10:11] offset:128
	global_load_b128 v[14:17], v38, s[10:11] offset:144
	s_clause 0x1
	scratch_store_b64 off, v[198:199], off offset:460
	scratch_store_b64 off, v[202:203], off offset:440
	v_add_f64 v[218:219], v[56:57], -v[108:109]
	s_delay_alu instid0(VALU_DEP_1)
	v_mul_f64 v[228:229], v[218:219], s[38:39]
	v_mul_f64 v[238:239], v[218:219], s[34:35]
	s_waitcnt vmcnt(1)
	v_mul_f64 v[8:9], v[50:51], v[12:13]
	scratch_store_b128 off, v[10:13], off offset:704 ; 16-byte Folded Spill
	s_waitcnt vmcnt(0)
	scratch_store_b128 off, v[14:17], off offset:816 ; 16-byte Folded Spill
	v_fma_f64 v[188:189], v[48:49], v[10:11], -v[8:9]
	v_mul_f64 v[8:9], v[48:49], v[12:13]
	s_delay_alu instid0(VALU_DEP_1) | instskip(SKIP_4) | instid1(VALU_DEP_1)
	v_fma_f64 v[200:201], v[50:51], v[10:11], v[8:9]
	v_mul_f64 v[8:9], v[34:35], v[16:17]
	scratch_store_b64 off, v[200:201], off offset:476 ; 8-byte Folded Spill
	v_fma_f64 v[44:45], v[32:33], v[14:15], -v[8:9]
	v_mul_f64 v[8:9], v[32:33], v[16:17]
	v_fma_f64 v[32:33], v[34:35], v[14:15], v[8:9]
	v_add_f64 v[8:9], v[182:183], -v[97:98]
	s_delay_alu instid0(VALU_DEP_1)
	v_mul_f64 v[10:11], v[8:9], s[26:27]
	v_mul_f64 v[12:13], v[8:9], s[24:25]
	;; [unrolled: 1-line block ×5, first 2 shown]
	v_fma_f64 v[20:21], v[18:19], s[20:21], -v[10:11]
	v_fma_f64 v[10:11], v[18:19], s[20:21], v[10:11]
	v_fma_f64 v[22:23], v[18:19], s[16:17], -v[12:13]
	v_fma_f64 v[12:13], v[18:19], s[16:17], v[12:13]
	v_fma_f64 v[24:25], v[18:19], s[0:1], -v[14:15]
	v_fma_f64 v[14:15], v[18:19], s[0:1], v[14:15]
	v_fma_f64 v[26:27], v[18:19], s[18:19], -v[16:17]
	v_fma_f64 v[16:17], v[18:19], s[18:19], v[16:17]
	v_fma_f64 v[28:29], v[18:19], s[12:13], -v[8:9]
	v_fma_f64 v[8:9], v[18:19], s[12:13], v[8:9]
	v_add_f64 v[18:19], v[184:185], -v[116:117]
	v_add_f64 v[20:21], v[4:5], v[20:21]
	v_add_f64 v[10:11], v[4:5], v[10:11]
	;; [unrolled: 1-line block ×6, first 2 shown]
	v_mul_f64 v[14:15], v[90:91], s[24:25]
	v_add_f64 v[99:100], v[4:5], v[26:27]
	v_add_f64 v[86:87], v[4:5], v[28:29]
	v_add_f64 v[28:29], v[154:155], -v[166:167]
	v_mul_f64 v[34:35], v[18:19], s[24:25]
	v_mul_f64 v[36:37], v[18:19], s[14:15]
	;; [unrolled: 1-line block ×5, first 2 shown]
	v_add_f64 v[103:104], v[4:5], v[16:17]
	v_mul_f64 v[16:17], v[28:29], s[14:15]
	v_fma_f64 v[46:47], v[40:41], s[16:17], v[34:35]
	v_fma_f64 v[34:35], v[40:41], s[16:17], -v[34:35]
	v_fma_f64 v[48:49], v[40:41], s[0:1], v[36:37]
	v_fma_f64 v[50:51], v[40:41], s[18:19], v[38:39]
	;; [unrolled: 1-line block ×3, first 2 shown]
	v_fma_f64 v[30:31], v[40:41], s[20:21], -v[30:31]
	v_fma_f64 v[36:37], v[40:41], s[0:1], -v[36:37]
	;; [unrolled: 1-line block ×3, first 2 shown]
	v_fma_f64 v[52:53], v[40:41], s[12:13], v[18:19]
	v_fma_f64 v[18:19], v[40:41], s[12:13], -v[18:19]
	v_add_f64 v[54:55], v[6:7], v[34:35]
	v_add_f64 v[92:93], v[6:7], v[48:49]
	;; [unrolled: 1-line block ×5, first 2 shown]
	v_mul_f64 v[8:9], v[88:89], s[24:25]
	v_add_f64 v[50:51], v[146:147], v[118:119]
	v_add_f64 v[40:41], v[6:7], v[42:43]
	v_add_f64 v[30:31], v[6:7], v[30:31]
	v_add_f64 v[42:43], v[6:7], v[46:47]
	v_add_f64 v[36:37], v[6:7], v[36:37]
	v_add_f64 v[105:106], v[6:7], v[38:39]
	v_add_f64 v[84:85], v[6:7], v[52:53]
	v_add_f64 v[46:47], v[6:7], v[18:19]
	v_fma_f64 v[18:19], v[80:81], s[0:1], -v[16:17]
	v_fma_f64 v[4:5], v[48:49], s[16:17], -v[8:9]
	v_fma_f64 v[6:7], v[50:51], s[16:17], v[14:15]
	v_fma_f64 v[8:9], v[48:49], s[16:17], v[8:9]
	s_delay_alu instid0(VALU_DEP_3) | instskip(NEXT) | instid1(VALU_DEP_3)
	v_add_f64 v[4:5], v[4:5], v[20:21]
	v_add_f64 v[6:7], v[6:7], v[40:41]
	v_add_f64 v[40:41], v[164:165], -v[168:169]
	s_delay_alu instid0(VALU_DEP_4) | instskip(SKIP_4) | instid1(VALU_DEP_4)
	v_add_f64 v[8:9], v[8:9], v[10:11]
	v_fma_f64 v[10:11], v[50:51], s[16:17], -v[14:15]
	v_fma_f64 v[14:15], v[80:81], s[0:1], v[16:17]
	v_add_f64 v[4:5], v[18:19], v[4:5]
	v_mul_f64 v[18:19], v[40:41], s[14:15]
	v_add_f64 v[10:11], v[10:11], v[30:31]
	s_delay_alu instid0(VALU_DEP_4) | instskip(NEXT) | instid1(VALU_DEP_3)
	v_add_f64 v[8:9], v[14:15], v[8:9]
	v_fma_f64 v[20:21], v[82:83], s[0:1], v[18:19]
	v_fma_f64 v[14:15], v[82:83], s[0:1], -v[18:19]
	s_delay_alu instid0(VALU_DEP_2) | instskip(SKIP_1) | instid1(VALU_DEP_3)
	v_add_f64 v[6:7], v[20:21], v[6:7]
	v_mul_f64 v[20:21], v[112:113], s[22:23]
	v_add_f64 v[10:11], v[14:15], v[10:11]
	s_delay_alu instid0(VALU_DEP_2) | instskip(SKIP_2) | instid1(VALU_DEP_3)
	v_fma_f64 v[26:27], v[114:115], s[18:19], -v[20:21]
	v_fma_f64 v[14:15], v[114:115], s[18:19], v[20:21]
	v_mul_f64 v[20:21], v[90:91], s[22:23]
	v_add_f64 v[4:5], v[26:27], v[4:5]
	v_mul_f64 v[26:27], v[120:121], s[22:23]
	s_delay_alu instid0(VALU_DEP_4) | instskip(NEXT) | instid1(VALU_DEP_4)
	v_add_f64 v[8:9], v[14:15], v[8:9]
	v_fma_f64 v[18:19], v[50:51], s[18:19], v[20:21]
	s_delay_alu instid0(VALU_DEP_3) | instskip(SKIP_1) | instid1(VALU_DEP_3)
	v_fma_f64 v[38:39], v[122:123], s[18:19], v[26:27]
	v_fma_f64 v[14:15], v[122:123], s[18:19], -v[26:27]
	v_add_f64 v[18:19], v[18:19], v[42:43]
	s_delay_alu instid0(VALU_DEP_3) | instskip(SKIP_1) | instid1(VALU_DEP_4)
	v_add_f64 v[6:7], v[38:39], v[6:7]
	v_mul_f64 v[38:39], v[124:125], s[28:29]
	v_add_f64 v[10:11], v[14:15], v[10:11]
	s_delay_alu instid0(VALU_DEP_2) | instskip(SKIP_1) | instid1(VALU_DEP_2)
	v_fma_f64 v[52:53], v[126:127], s[12:13], -v[38:39]
	v_fma_f64 v[14:15], v[126:127], s[12:13], v[38:39]
	v_add_f64 v[4:5], v[52:53], v[4:5]
	v_mul_f64 v[52:53], v[128:129], s[28:29]
	s_delay_alu instid0(VALU_DEP_3) | instskip(SKIP_1) | instid1(VALU_DEP_3)
	v_add_f64 v[8:9], v[14:15], v[8:9]
	v_mul_f64 v[14:15], v[88:89], s[22:23]
	v_fma_f64 v[16:17], v[130:131], s[12:13], -v[52:53]
	v_fma_f64 v[182:183], v[130:131], s[12:13], v[52:53]
	s_delay_alu instid0(VALU_DEP_2) | instskip(NEXT) | instid1(VALU_DEP_4)
	v_add_f64 v[10:11], v[16:17], v[10:11]
	v_fma_f64 v[16:17], v[48:49], s[18:19], -v[14:15]
	v_fma_f64 v[14:15], v[48:49], s[18:19], v[14:15]
	s_delay_alu instid0(VALU_DEP_4) | instskip(NEXT) | instid1(VALU_DEP_3)
	v_add_f64 v[6:7], v[182:183], v[6:7]
	v_add_f64 v[16:17], v[16:17], v[22:23]
	v_mul_f64 v[22:23], v[28:29], s[38:39]
	s_delay_alu instid0(VALU_DEP_4) | instskip(SKIP_1) | instid1(VALU_DEP_3)
	v_add_f64 v[12:13], v[14:15], v[12:13]
	v_fma_f64 v[14:15], v[50:51], s[18:19], -v[20:21]
	v_fma_f64 v[26:27], v[80:81], s[12:13], -v[22:23]
	v_fma_f64 v[20:21], v[80:81], s[12:13], v[22:23]
	s_delay_alu instid0(VALU_DEP_3) | instskip(SKIP_1) | instid1(VALU_DEP_4)
	v_add_f64 v[14:15], v[14:15], v[54:55]
	v_mul_f64 v[54:55], v[120:121], s[26:27]
	v_add_f64 v[16:17], v[26:27], v[16:17]
	v_mul_f64 v[26:27], v[40:41], s[38:39]
	v_add_f64 v[12:13], v[20:21], v[12:13]
	s_delay_alu instid0(VALU_DEP_2) | instskip(SKIP_1) | instid1(VALU_DEP_2)
	v_fma_f64 v[30:31], v[82:83], s[12:13], v[26:27]
	v_fma_f64 v[20:21], v[82:83], s[12:13], -v[26:27]
	v_add_f64 v[18:19], v[30:31], v[18:19]
	v_mul_f64 v[30:31], v[112:113], s[36:37]
	s_delay_alu instid0(VALU_DEP_3) | instskip(NEXT) | instid1(VALU_DEP_2)
	v_add_f64 v[14:15], v[20:21], v[14:15]
	v_fma_f64 v[38:39], v[114:115], s[0:1], -v[30:31]
	v_fma_f64 v[20:21], v[114:115], s[0:1], v[30:31]
	v_mul_f64 v[30:31], v[90:91], s[38:39]
	s_delay_alu instid0(VALU_DEP_3) | instskip(SKIP_1) | instid1(VALU_DEP_4)
	v_add_f64 v[16:17], v[38:39], v[16:17]
	v_mul_f64 v[38:39], v[120:121], s[36:37]
	v_add_f64 v[12:13], v[20:21], v[12:13]
	s_delay_alu instid0(VALU_DEP_2) | instskip(SKIP_2) | instid1(VALU_DEP_3)
	v_fma_f64 v[42:43], v[122:123], s[0:1], v[38:39]
	v_fma_f64 v[20:21], v[122:123], s[0:1], -v[38:39]
	v_mul_f64 v[38:39], v[28:29], s[34:35]
	v_add_f64 v[18:19], v[42:43], v[18:19]
	v_mul_f64 v[42:43], v[124:125], s[30:31]
	s_delay_alu instid0(VALU_DEP_4) | instskip(NEXT) | instid1(VALU_DEP_4)
	v_add_f64 v[14:15], v[20:21], v[14:15]
	v_fma_f64 v[26:27], v[80:81], s[16:17], -v[38:39]
	s_delay_alu instid0(VALU_DEP_3) | instskip(SKIP_2) | instid1(VALU_DEP_3)
	v_fma_f64 v[52:53], v[126:127], s[20:21], -v[42:43]
	v_fma_f64 v[20:21], v[126:127], s[20:21], v[42:43]
	v_mul_f64 v[42:43], v[40:41], s[34:35]
	v_add_f64 v[16:17], v[52:53], v[16:17]
	v_mul_f64 v[52:53], v[128:129], s[30:31]
	s_delay_alu instid0(VALU_DEP_4) | instskip(SKIP_1) | instid1(VALU_DEP_3)
	v_add_f64 v[12:13], v[20:21], v[12:13]
	v_mul_f64 v[20:21], v[88:89], s[38:39]
	v_fma_f64 v[22:23], v[130:131], s[20:21], -v[52:53]
	v_fma_f64 v[182:183], v[130:131], s[20:21], v[52:53]
	v_mul_f64 v[52:53], v[112:113], s[26:27]
	s_delay_alu instid0(VALU_DEP_3) | instskip(SKIP_3) | instid1(VALU_DEP_3)
	v_add_f64 v[14:15], v[22:23], v[14:15]
	v_fma_f64 v[22:23], v[48:49], s[12:13], -v[20:21]
	v_fma_f64 v[20:21], v[48:49], s[12:13], v[20:21]
	v_add_f64 v[18:19], v[182:183], v[18:19]
	v_add_f64 v[22:23], v[22:23], v[24:25]
	v_fma_f64 v[24:25], v[50:51], s[12:13], v[30:31]
	v_fma_f64 v[30:31], v[50:51], s[12:13], -v[30:31]
	v_add_f64 v[20:21], v[20:21], v[94:95]
	s_delay_alu instid0(VALU_DEP_4) | instskip(NEXT) | instid1(VALU_DEP_4)
	v_add_f64 v[22:23], v[26:27], v[22:23]
	v_add_f64 v[24:25], v[24:25], v[92:93]
	v_fma_f64 v[26:27], v[82:83], s[16:17], v[42:43]
	v_add_f64 v[30:31], v[30:31], v[36:37]
	v_fma_f64 v[36:37], v[80:81], s[16:17], v[38:39]
	v_mul_f64 v[92:93], v[124:125], s[22:23]
	s_delay_alu instid0(VALU_DEP_4) | instskip(SKIP_1) | instid1(VALU_DEP_4)
	v_add_f64 v[24:25], v[26:27], v[24:25]
	v_fma_f64 v[26:27], v[114:115], s[20:21], -v[52:53]
	v_add_f64 v[20:21], v[36:37], v[20:21]
	v_fma_f64 v[36:37], v[82:83], s[16:17], -v[42:43]
	v_mul_f64 v[42:43], v[90:91], s[36:37]
	s_delay_alu instid0(VALU_DEP_4) | instskip(SKIP_1) | instid1(VALU_DEP_4)
	v_add_f64 v[22:23], v[26:27], v[22:23]
	v_fma_f64 v[26:27], v[122:123], s[20:21], v[54:55]
	v_add_f64 v[30:31], v[36:37], v[30:31]
	v_fma_f64 v[36:37], v[114:115], s[20:21], v[52:53]
	v_mul_f64 v[52:53], v[28:29], s[26:27]
	v_fma_f64 v[38:39], v[50:51], s[0:1], v[42:43]
	v_fma_f64 v[42:43], v[50:51], s[0:1], -v[42:43]
	v_add_f64 v[26:27], v[26:27], v[24:25]
	v_fma_f64 v[24:25], v[126:127], s[18:19], -v[92:93]
	v_add_f64 v[20:21], v[36:37], v[20:21]
	v_fma_f64 v[36:37], v[122:123], s[20:21], -v[54:55]
	v_fma_f64 v[54:55], v[80:81], s[20:21], -v[52:53]
	v_add_f64 v[38:39], v[38:39], v[101:102]
	v_fma_f64 v[52:53], v[80:81], s[20:21], v[52:53]
	v_add_f64 v[42:43], v[42:43], v[105:106]
	v_add_f64 v[24:25], v[24:25], v[22:23]
	v_mul_f64 v[22:23], v[128:129], s[22:23]
	v_add_f64 v[30:31], v[36:37], v[30:31]
	v_fma_f64 v[36:37], v[126:127], s[18:19], v[92:93]
	s_delay_alu instid0(VALU_DEP_3) | instskip(SKIP_1) | instid1(VALU_DEP_3)
	v_fma_f64 v[182:183], v[130:131], s[18:19], v[22:23]
	v_fma_f64 v[22:23], v[130:131], s[18:19], -v[22:23]
	v_add_f64 v[20:21], v[36:37], v[20:21]
	s_delay_alu instid0(VALU_DEP_3) | instskip(NEXT) | instid1(VALU_DEP_3)
	v_add_f64 v[26:27], v[182:183], v[26:27]
	v_add_f64 v[22:23], v[22:23], v[30:31]
	v_mul_f64 v[30:31], v[88:89], s[36:37]
	s_delay_alu instid0(VALU_DEP_1) | instskip(SKIP_1) | instid1(VALU_DEP_2)
	v_fma_f64 v[36:37], v[48:49], s[0:1], -v[30:31]
	v_fma_f64 v[30:31], v[48:49], s[0:1], v[30:31]
	v_add_f64 v[36:37], v[36:37], v[99:100]
	s_delay_alu instid0(VALU_DEP_2) | instskip(NEXT) | instid1(VALU_DEP_2)
	v_add_f64 v[30:31], v[30:31], v[103:104]
	v_add_f64 v[36:37], v[54:55], v[36:37]
	v_mul_f64 v[54:55], v[40:41], s[26:27]
	s_delay_alu instid0(VALU_DEP_3) | instskip(SKIP_1) | instid1(VALU_DEP_3)
	v_add_f64 v[30:31], v[52:53], v[30:31]
	v_mul_f64 v[40:41], v[40:41], s[22:23]
	v_fma_f64 v[92:93], v[82:83], s[20:21], v[54:55]
	v_fma_f64 v[52:53], v[82:83], s[20:21], -v[54:55]
	s_delay_alu instid0(VALU_DEP_2) | instskip(SKIP_1) | instid1(VALU_DEP_3)
	v_add_f64 v[38:39], v[92:93], v[38:39]
	v_mul_f64 v[92:93], v[112:113], s[28:29]
	v_add_f64 v[42:43], v[52:53], v[42:43]
	s_delay_alu instid0(VALU_DEP_2) | instskip(SKIP_1) | instid1(VALU_DEP_2)
	v_fma_f64 v[94:95], v[114:115], s[12:13], -v[92:93]
	v_fma_f64 v[52:53], v[114:115], s[12:13], v[92:93]
	v_add_f64 v[36:37], v[94:95], v[36:37]
	v_mul_f64 v[94:95], v[120:121], s[28:29]
	s_delay_alu instid0(VALU_DEP_3) | instskip(NEXT) | instid1(VALU_DEP_2)
	v_add_f64 v[30:31], v[52:53], v[30:31]
	v_fma_f64 v[99:100], v[122:123], s[12:13], v[94:95]
	v_fma_f64 v[52:53], v[122:123], s[12:13], -v[94:95]
	v_mul_f64 v[94:95], v[128:129], s[14:15]
	s_delay_alu instid0(VALU_DEP_3) | instskip(SKIP_1) | instid1(VALU_DEP_4)
	v_add_f64 v[38:39], v[99:100], v[38:39]
	v_mul_f64 v[99:100], v[124:125], s[34:35]
	v_add_f64 v[42:43], v[52:53], v[42:43]
	s_delay_alu instid0(VALU_DEP_2) | instskip(SKIP_1) | instid1(VALU_DEP_2)
	v_fma_f64 v[101:102], v[126:127], s[16:17], -v[99:100]
	v_fma_f64 v[52:53], v[126:127], s[16:17], v[99:100]
	v_add_f64 v[36:37], v[101:102], v[36:37]
	v_mul_f64 v[101:102], v[128:129], s[34:35]
	s_delay_alu instid0(VALU_DEP_3) | instskip(SKIP_1) | instid1(VALU_DEP_1)
	v_add_f64 v[52:53], v[52:53], v[30:31]
	v_dual_mov_b32 v128, v190 :: v_dual_mov_b32 v129, v191
	v_add_f64 v[222:223], v[128:129], -v[200:201]
	s_delay_alu instid0(VALU_DEP_4) | instskip(SKIP_1) | instid1(VALU_DEP_3)
	v_fma_f64 v[54:55], v[130:131], s[16:17], -v[101:102]
	v_fma_f64 v[182:183], v[130:131], s[16:17], v[101:102]
	v_mul_f64 v[224:225], v[222:223], s[22:23]
	v_mul_f64 v[226:227], v[222:223], s[38:39]
	s_delay_alu instid0(VALU_DEP_4) | instskip(SKIP_4) | instid1(VALU_DEP_4)
	v_add_f64 v[54:55], v[54:55], v[42:43]
	v_mul_f64 v[42:43], v[88:89], s[30:31]
	v_add_f64 v[38:39], v[182:183], v[38:39]
	v_add_f64 v[182:183], v[128:129], v[200:201]
	v_mul_f64 v[200:201], v[220:221], s[22:23]
	v_fma_f64 v[30:31], v[48:49], s[20:21], -v[42:43]
	v_fma_f64 v[42:43], v[48:49], s[20:21], v[42:43]
	s_delay_alu instid0(VALU_DEP_2) | instskip(SKIP_1) | instid1(VALU_DEP_3)
	v_add_f64 v[30:31], v[30:31], v[86:87]
	v_mul_f64 v[86:87], v[90:91], s[30:31]
	v_add_f64 v[34:35], v[42:43], v[34:35]
	s_delay_alu instid0(VALU_DEP_2) | instskip(SKIP_1) | instid1(VALU_DEP_2)
	v_fma_f64 v[88:89], v[50:51], s[20:21], v[86:87]
	v_fma_f64 v[48:49], v[50:51], s[20:21], -v[86:87]
	v_add_f64 v[84:85], v[88:89], v[84:85]
	v_mul_f64 v[88:89], v[28:29], s[22:23]
	s_delay_alu instid0(VALU_DEP_3) | instskip(NEXT) | instid1(VALU_DEP_2)
	v_add_f64 v[42:43], v[48:49], v[46:47]
	v_fma_f64 v[28:29], v[80:81], s[18:19], -v[88:89]
	v_fma_f64 v[50:51], v[80:81], s[18:19], v[88:89]
	v_add_f64 v[80:81], v[74:75], -v[32:33]
	s_delay_alu instid0(VALU_DEP_3)
	v_add_f64 v[28:29], v[28:29], v[30:31]
	v_fma_f64 v[30:31], v[82:83], s[18:19], v[40:41]
	v_fma_f64 v[40:41], v[82:83], s[18:19], -v[40:41]
	v_add_f64 v[34:35], v[50:51], v[34:35]
	v_mul_f64 v[88:89], v[80:81], s[26:27]
	v_fma_f64 v[50:51], v[130:131], s[0:1], -v[94:95]
	v_add_f64 v[30:31], v[30:31], v[84:85]
	v_mul_f64 v[84:85], v[112:113], s[34:35]
	v_add_f64 v[40:41], v[40:41], v[42:43]
	s_delay_alu instid0(VALU_DEP_2) | instskip(SKIP_1) | instid1(VALU_DEP_2)
	v_fma_f64 v[90:91], v[114:115], s[16:17], -v[84:85]
	v_fma_f64 v[46:47], v[114:115], s[16:17], v[84:85]
	v_add_f64 v[28:29], v[90:91], v[28:29]
	v_mul_f64 v[90:91], v[120:121], s[34:35]
	s_delay_alu instid0(VALU_DEP_3) | instskip(NEXT) | instid1(VALU_DEP_2)
	v_add_f64 v[34:35], v[46:47], v[34:35]
	v_fma_f64 v[92:93], v[122:123], s[16:17], v[90:91]
	v_fma_f64 v[48:49], v[122:123], s[16:17], -v[90:91]
	v_add_f64 v[90:91], v[72:73], v[44:45]
	s_delay_alu instid0(VALU_DEP_3) | instskip(SKIP_1) | instid1(VALU_DEP_4)
	v_add_f64 v[30:31], v[92:93], v[30:31]
	v_mul_f64 v[92:93], v[124:125], s[14:15]
	v_add_f64 v[46:47], v[48:49], v[40:41]
	v_dual_mov_b32 v124, v186 :: v_dual_mov_b32 v125, v187
	s_delay_alu instid0(VALU_DEP_3) | instskip(SKIP_4) | instid1(VALU_DEP_3)
	v_fma_f64 v[42:43], v[126:127], s[0:1], v[92:93]
	v_fma_f64 v[99:100], v[126:127], s[0:1], -v[92:93]
	v_dual_mov_b32 v126, v188 :: v_dual_mov_b32 v127, v189
	v_add_f64 v[92:93], v[74:75], v[32:33]
	v_add_f64 v[188:189], v[56:57], v[108:109]
	v_add_f64 v[184:185], v[124:125], -v[126:127]
	v_add_f64 v[40:41], v[42:43], v[34:35]
	v_fma_f64 v[34:35], v[90:91], s[20:21], v[88:89]
	v_add_f64 v[28:29], v[99:100], v[28:29]
	v_fma_f64 v[99:100], v[130:131], s[0:1], v[94:95]
	v_add_f64 v[42:43], v[50:51], v[46:47]
	v_mul_f64 v[46:47], v[222:223], s[24:25]
	v_add_f64 v[94:95], v[72:73], -v[44:45]
	v_mov_b32_e32 v130, v192
	v_mul_f64 v[186:187], v[184:185], s[24:25]
	v_mov_b32_e32 v131, v193
	v_mul_f64 v[236:237], v[184:185], s[22:23]
	v_mul_f64 v[246:247], v[184:185], s[38:39]
	s_delay_alu instid0(VALU_DEP_3)
	v_add_f64 v[192:193], v[130:131], -v[198:199]
	v_add_f64 v[48:49], v[0:1], v[34:35]
	v_add_f64 v[34:35], v[124:125], v[126:127]
	;; [unrolled: 1-line block ×3, first 2 shown]
	v_mul_f64 v[82:83], v[94:95], s[26:27]
	v_fma_f64 v[103:104], v[182:183], s[18:19], -v[236:237]
	v_fma_f64 v[112:113], v[182:183], s[12:13], -v[246:247]
	v_mul_f64 v[190:191], v[192:193], s[14:15]
	v_mul_f64 v[242:243], v[192:193], s[38:39]
	;; [unrolled: 1-line block ×3, first 2 shown]
	v_fma_f64 v[50:51], v[34:35], s[16:17], v[46:47]
	s_delay_alu instid0(VALU_DEP_1) | instskip(SKIP_2) | instid1(VALU_DEP_2)
	v_add_f64 v[84:85], v[50:51], v[48:49]
	v_fma_f64 v[48:49], v[92:93], s[20:21], -v[82:83]
	v_fma_f64 v[50:51], v[182:183], s[16:17], -v[186:187]
	v_add_f64 v[48:49], v[2:3], v[48:49]
	s_delay_alu instid0(VALU_DEP_1) | instskip(SKIP_4) | instid1(VALU_DEP_3)
	v_add_f64 v[86:87], v[50:51], v[48:49]
	v_add_f64 v[48:49], v[130:131], v[198:199]
	v_mul_f64 v[50:51], v[218:219], s[14:15]
	v_add_f64 v[198:199], v[202:203], v[60:61]
	v_add_f64 v[202:203], v[64:65], v[66:67]
	v_fma_f64 v[99:100], v[48:49], s[0:1], v[50:51]
	s_delay_alu instid0(VALU_DEP_1) | instskip(SKIP_1) | instid1(VALU_DEP_1)
	v_add_f64 v[84:85], v[99:100], v[84:85]
	v_fma_f64 v[99:100], v[188:189], s[0:1], -v[190:191]
	v_add_f64 v[86:87], v[99:100], v[86:87]
	v_fma_f64 v[99:100], v[198:199], s[18:19], v[200:201]
	s_delay_alu instid0(VALU_DEP_1) | instskip(SKIP_1) | instid1(VALU_DEP_1)
	v_add_f64 v[84:85], v[99:100], v[84:85]
	v_fma_f64 v[99:100], v[206:207], s[18:19], -v[208:209]
	;; [unrolled: 5-line block ×3, first 2 shown]
	v_add_f64 v[101:102], v[84:85], v[86:87]
	v_fma_f64 v[86:87], v[34:35], s[18:19], v[224:225]
	scratch_store_b128 off, v[99:102], off offset:16 ; 16-byte Folded Spill
	v_mul_f64 v[99:100], v[80:81], s[24:25]
	v_mul_f64 v[101:102], v[94:95], s[24:25]
	s_delay_alu instid0(VALU_DEP_2) | instskip(NEXT) | instid1(VALU_DEP_1)
	v_fma_f64 v[84:85], v[90:91], s[16:17], v[99:100]
	v_add_f64 v[84:85], v[0:1], v[84:85]
	s_delay_alu instid0(VALU_DEP_1) | instskip(NEXT) | instid1(VALU_DEP_4)
	v_add_f64 v[84:85], v[86:87], v[84:85]
	v_fma_f64 v[86:87], v[92:93], s[16:17], -v[101:102]
	s_delay_alu instid0(VALU_DEP_1) | instskip(NEXT) | instid1(VALU_DEP_1)
	v_add_f64 v[86:87], v[2:3], v[86:87]
	v_add_f64 v[86:87], v[103:104], v[86:87]
	v_fma_f64 v[103:104], v[48:49], s[12:13], v[228:229]
	s_delay_alu instid0(VALU_DEP_1) | instskip(SKIP_1) | instid1(VALU_DEP_1)
	v_add_f64 v[84:85], v[103:104], v[84:85]
	v_fma_f64 v[103:104], v[188:189], s[12:13], -v[242:243]
	v_add_f64 v[86:87], v[103:104], v[86:87]
	v_fma_f64 v[103:104], v[198:199], s[0:1], v[232:233]
	s_delay_alu instid0(VALU_DEP_1) | instskip(SKIP_1) | instid1(VALU_DEP_1)
	v_add_f64 v[84:85], v[103:104], v[84:85]
	v_fma_f64 v[103:104], v[206:207], s[0:1], -v[248:249]
	;; [unrolled: 5-line block ×3, first 2 shown]
	v_add_f64 v[105:106], v[84:85], v[86:87]
	v_fma_f64 v[86:87], v[34:35], s[12:13], v[226:227]
	scratch_store_b128 off, v[103:106], off ; 16-byte Folded Spill
	v_mul_f64 v[103:104], v[80:81], s[14:15]
	v_mul_f64 v[105:106], v[94:95], s[14:15]
	s_delay_alu instid0(VALU_DEP_2) | instskip(NEXT) | instid1(VALU_DEP_1)
	v_fma_f64 v[84:85], v[90:91], s[0:1], v[103:104]
	v_add_f64 v[84:85], v[0:1], v[84:85]
	s_delay_alu instid0(VALU_DEP_1) | instskip(NEXT) | instid1(VALU_DEP_4)
	v_add_f64 v[84:85], v[86:87], v[84:85]
	v_fma_f64 v[86:87], v[92:93], s[0:1], -v[105:106]
	s_delay_alu instid0(VALU_DEP_1) | instskip(NEXT) | instid1(VALU_DEP_1)
	v_add_f64 v[86:87], v[2:3], v[86:87]
	v_add_f64 v[86:87], v[112:113], v[86:87]
	v_fma_f64 v[112:113], v[48:49], s[16:17], v[238:239]
	s_delay_alu instid0(VALU_DEP_1) | instskip(SKIP_1) | instid1(VALU_DEP_1)
	v_add_f64 v[84:85], v[112:113], v[84:85]
	v_fma_f64 v[112:113], v[188:189], s[16:17], -v[252:253]
	v_add_f64 v[86:87], v[112:113], v[86:87]
	v_fma_f64 v[112:113], v[198:199], s[20:21], v[244:245]
	s_delay_alu instid0(VALU_DEP_1) | instskip(SKIP_1) | instid1(VALU_DEP_1)
	v_add_f64 v[84:85], v[112:113], v[84:85]
	v_fma_f64 v[112:113], v[206:207], s[20:21], -v[254:255]
	v_add_f64 v[86:87], v[112:113], v[86:87]
	v_fma_f64 v[112:113], v[202:203], s[18:19], v[240:241]
	s_delay_alu instid0(VALU_DEP_1) | instskip(SKIP_1) | instid1(VALU_DEP_1)
	v_add_f64 v[120:121], v[112:113], v[84:85]
	v_mul_f64 v[84:85], v[216:217], s[22:23]
	v_fma_f64 v[112:113], v[212:213], s[18:19], -v[84:85]
	s_delay_alu instid0(VALU_DEP_1)
	v_add_f64 v[122:123], v[112:113], v[86:87]
	v_add_f64 v[112:113], v[196:197], v[146:147]
	v_add_f64 v[86:87], v[194:195], v[152:153]
	v_mul_f64 v[152:153], v[80:81], s[22:23]
	v_mul_f64 v[146:147], v[216:217], s[34:35]
	scratch_store_b128 off, v[120:123], off offset:32 ; 16-byte Folded Spill
	v_add_f64 v[112:113], v[112:113], v[154:155]
	v_add_f64 v[86:87], v[86:87], v[164:165]
	v_mul_f64 v[154:155], v[94:95], s[22:23]
	s_delay_alu instid0(VALU_DEP_3) | instskip(NEXT) | instid1(VALU_DEP_3)
	v_add_f64 v[76:77], v[112:113], v[76:77]
	v_add_f64 v[86:87], v[86:87], v[170:171]
	s_delay_alu instid0(VALU_DEP_2) | instskip(NEXT) | instid1(VALU_DEP_2)
	v_add_f64 v[76:77], v[76:77], v[172:173]
	v_add_f64 v[78:79], v[86:87], v[78:79]
	s_delay_alu instid0(VALU_DEP_2) | instskip(NEXT) | instid1(VALU_DEP_2)
	;; [unrolled: 3-line block ×5, first 2 shown]
	v_add_f64 v[76:77], v[76:77], v[118:119]
	v_add_f64 v[78:79], v[78:79], v[144:145]
	v_mul_f64 v[118:119], v[192:193], s[26:27]
	v_mul_f64 v[144:145], v[210:211], s[28:29]
	s_delay_alu instid0(VALU_DEP_4) | instskip(SKIP_3) | instid1(VALU_DEP_3)
	v_add_f64 v[166:167], v[76:77], v[97:98]
	v_fma_f64 v[76:77], v[90:91], s[18:19], v[152:153]
	v_add_f64 v[164:165], v[78:79], v[116:117]
	v_mul_f64 v[116:117], v[184:185], s[36:37]
	v_add_f64 v[78:79], v[0:1], v[76:77]
	v_mul_f64 v[76:77], v[222:223], s[36:37]
	s_delay_alu instid0(VALU_DEP_3) | instskip(NEXT) | instid1(VALU_DEP_2)
	v_fma_f64 v[97:98], v[182:183], s[0:1], -v[116:117]
	v_fma_f64 v[86:87], v[34:35], s[0:1], v[76:77]
	s_delay_alu instid0(VALU_DEP_1) | instskip(SKIP_1) | instid1(VALU_DEP_1)
	v_add_f64 v[86:87], v[86:87], v[78:79]
	v_fma_f64 v[78:79], v[92:93], s[18:19], -v[154:155]
	v_add_f64 v[78:79], v[2:3], v[78:79]
	s_delay_alu instid0(VALU_DEP_1) | instskip(SKIP_1) | instid1(VALU_DEP_1)
	v_add_f64 v[97:98], v[97:98], v[78:79]
	v_mul_f64 v[78:79], v[218:219], s[26:27]
	v_fma_f64 v[112:113], v[48:49], s[20:21], v[78:79]
	s_delay_alu instid0(VALU_DEP_1) | instskip(SKIP_1) | instid1(VALU_DEP_1)
	v_add_f64 v[86:87], v[112:113], v[86:87]
	v_fma_f64 v[112:113], v[188:189], s[20:21], -v[118:119]
	v_add_f64 v[112:113], v[112:113], v[97:98]
	v_mul_f64 v[97:98], v[220:221], s[28:29]
	s_delay_alu instid0(VALU_DEP_1) | instskip(NEXT) | instid1(VALU_DEP_1)
	v_fma_f64 v[114:115], v[198:199], s[12:13], v[97:98]
	v_add_f64 v[114:115], v[114:115], v[86:87]
	v_fma_f64 v[86:87], v[206:207], s[12:13], -v[144:145]
	s_delay_alu instid0(VALU_DEP_1) | instskip(SKIP_1) | instid1(VALU_DEP_1)
	v_add_f64 v[112:113], v[86:87], v[112:113]
	v_mul_f64 v[86:87], v[234:235], s[34:35]
	v_fma_f64 v[120:121], v[202:203], s[16:17], v[86:87]
	s_delay_alu instid0(VALU_DEP_1) | instskip(SKIP_1) | instid1(VALU_DEP_1)
	v_add_f64 v[120:121], v[120:121], v[114:115]
	v_fma_f64 v[114:115], v[212:213], s[16:17], -v[146:147]
	v_add_f64 v[122:123], v[114:115], v[112:113]
	scratch_load_b32 v112, off, off offset:360 ; 4-byte Folded Reload
	scratch_store_b128 off, v[120:123], off offset:48 ; 16-byte Folded Spill
	scratch_load_b32 v122, off, off offset:648 ; 4-byte Folded Reload
	s_waitcnt vmcnt(0)
	s_waitcnt_vscnt null, 0x0
	s_barrier
	buffer_gl0_inv
	v_and_b32_e32 v112, 0xffff, v112
	s_delay_alu instid0(VALU_DEP_1) | instskip(NEXT) | instid1(VALU_DEP_1)
	v_mul_u32_u24_e32 v112, 0x42, v112
	v_add_nc_u32_e32 v110, v112, v110
	v_lshlrev_b32_e32 v115, 4, v122
	s_delay_alu instid0(VALU_DEP_1)
	v_lshl_add_u32 v110, v110, 4, v115
	ds_store_b128 v110, v[16:19] offset:192
	ds_store_b128 v110, v[24:27] offset:288
	;; [unrolled: 1-line block ×10, first 2 shown]
	ds_store_b128 v110, v[164:167]
	v_and_b32_e32 v4, 0xffff, v111
	scratch_store_b32 off, v4, off offset:360 ; 4-byte Folded Spill
	s_and_saveexec_b32 s33, vcc_lo
	s_cbranch_execz .LBB0_5
; %bb.4:
	v_mul_f64 v[4:5], v[92:93], s[12:13]
	v_mul_f64 v[8:9], v[92:93], s[18:19]
	;; [unrolled: 1-line block ×11, first 2 shown]
	v_add_f64 v[28:29], v[2:3], v[74:75]
	v_add_f64 v[30:31], v[0:1], v[72:73]
	v_mul_f64 v[40:41], v[218:219], s[22:23]
	v_mul_f64 v[42:43], v[206:207], s[16:17]
	;; [unrolled: 1-line block ×8, first 2 shown]
	v_fma_f64 v[6:7], v[94:95], s[38:39], v[4:5]
	v_fma_f64 v[4:5], v[94:95], s[28:29], v[4:5]
	v_add_f64 v[8:9], v[154:155], v[8:9]
	v_add_f64 v[10:11], v[105:106], v[10:11]
	;; [unrolled: 1-line block ×3, first 2 shown]
	v_add_f64 v[14:15], v[14:15], -v[99:100]
	v_add_f64 v[16:17], v[16:17], -v[103:104]
	;; [unrolled: 1-line block ×3, first 2 shown]
	v_add_f64 v[20:21], v[82:83], v[20:21]
	v_fma_f64 v[24:25], v[90:91], s[12:13], v[22:23]
	v_fma_f64 v[22:23], v[90:91], s[12:13], -v[22:23]
	v_add_f64 v[26:27], v[26:27], -v[88:89]
	v_mul_f64 v[82:83], v[48:49], s[12:13]
	v_mul_f64 v[88:89], v[206:207], s[0:1]
	;; [unrolled: 1-line block ×3, first 2 shown]
	v_add_f64 v[28:29], v[28:29], v[128:129]
	v_mul_f64 v[99:100], v[34:35], s[0:1]
	v_add_f64 v[30:31], v[30:31], v[124:125]
	v_add_f64 v[74:75], v[74:75], -v[224:225]
	v_add_f64 v[80:81], v[242:243], v[80:81]
	v_mul_f64 v[94:95], v[182:183], s[0:1]
	v_mul_f64 v[101:102], v[48:49], s[20:21]
	;; [unrolled: 1-line block ×4, first 2 shown]
	v_add_f64 v[84:85], v[84:85], v[92:93]
	v_mul_f64 v[92:93], v[202:203], s[18:19]
	v_add_f64 v[6:7], v[2:3], v[6:7]
	v_add_f64 v[36:37], v[2:3], v[4:5]
	;; [unrolled: 1-line block ×12, first 2 shown]
	v_mul_f64 v[26:27], v[182:183], s[20:21]
	v_fma_f64 v[2:3], v[34:35], s[20:21], v[38:39]
	v_add_f64 v[82:83], v[82:83], -v[228:229]
	v_add_f64 v[88:89], v[248:249], v[88:89]
	v_add_f64 v[90:91], v[90:91], -v[232:233]
	v_add_f64 v[28:29], v[28:29], v[56:57]
	scratch_load_b64 v[56:57], off, off offset:440 ; 8-byte Folded Reload
	v_add_f64 v[76:77], v[99:100], -v[76:77]
	v_add_f64 v[30:31], v[30:31], v[130:131]
	v_fma_f64 v[38:39], v[34:35], s[20:21], -v[38:39]
	v_add_f64 v[94:95], v[116:117], v[94:95]
	v_mul_f64 v[99:100], v[188:189], s[20:21]
	v_add_f64 v[78:79], v[101:102], -v[78:79]
	v_mul_f64 v[101:102], v[206:207], s[12:13]
	v_add_f64 v[86:87], v[105:106], -v[86:87]
	;; [unrolled: 2-line block ×4, first 2 shown]
	v_fma_f64 v[0:1], v[184:185], s[26:27], v[26:27]
	v_add_f64 v[2:3], v[2:3], v[24:25]
	v_mul_f64 v[24:25], v[188:189], s[18:19]
	s_mov_b32 s27, 0x3fe82f19
	s_mov_b32 s26, s22
	v_add_f64 v[28:29], v[28:29], v[58:59]
	v_fma_f64 v[26:27], v[184:185], s[30:31], v[26:27]
	v_fma_f64 v[58:59], v[216:217], s[14:15], v[72:73]
	v_add_f64 v[18:19], v[38:39], v[18:19]
	v_add_f64 v[8:9], v[94:95], v[8:9]
	;; [unrolled: 1-line block ×7, first 2 shown]
	v_fma_f64 v[6:7], v[192:193], s[26:27], v[24:25]
	v_fma_f64 v[24:25], v[192:193], s[22:23], v[24:25]
	v_add_f64 v[28:29], v[28:29], v[68:69]
	v_add_f64 v[8:9], v[99:100], v[8:9]
	;; [unrolled: 1-line block ×4, first 2 shown]
	v_fma_f64 v[6:7], v[48:49], s[18:19], v[40:41]
	v_fma_f64 v[40:41], v[48:49], s[18:19], -v[40:41]
	v_add_f64 v[28:29], v[28:29], v[70:71]
	s_delay_alu instid0(VALU_DEP_3) | instskip(SKIP_3) | instid1(VALU_DEP_3)
	v_add_f64 v[2:3], v[6:7], v[2:3]
	v_fma_f64 v[6:7], v[210:211], s[24:25], v[42:43]
	v_fma_f64 v[42:43], v[210:211], s[34:35], v[42:43]
	v_add_f64 v[18:19], v[40:41], v[18:19]
	v_add_f64 v[0:1], v[6:7], v[0:1]
	v_fma_f64 v[6:7], v[198:199], s[16:17], v[52:53]
	v_fma_f64 v[52:53], v[198:199], s[16:17], -v[52:53]
	s_delay_alu instid0(VALU_DEP_2) | instskip(SKIP_1) | instid1(VALU_DEP_3)
	v_add_f64 v[6:7], v[6:7], v[2:3]
	v_fma_f64 v[2:3], v[216:217], s[36:37], v[72:73]
	v_add_f64 v[40:41], v[52:53], v[18:19]
	s_delay_alu instid0(VALU_DEP_2) | instskip(SKIP_1) | instid1(VALU_DEP_1)
	v_add_f64 v[2:3], v[2:3], v[0:1]
	v_fma_f64 v[0:1], v[202:203], s[0:1], v[54:55]
	v_add_f64 v[0:1], v[0:1], v[6:7]
	v_mul_f64 v[6:7], v[182:183], s[18:19]
	s_delay_alu instid0(VALU_DEP_1) | instskip(NEXT) | instid1(VALU_DEP_1)
	v_add_f64 v[6:7], v[236:237], v[6:7]
	v_add_f64 v[4:5], v[6:7], v[4:5]
	;; [unrolled: 1-line block ×3, first 2 shown]
	v_mul_f64 v[12:13], v[212:213], s[20:21]
	v_mul_f64 v[74:75], v[202:203], s[20:21]
	s_delay_alu instid0(VALU_DEP_4) | instskip(NEXT) | instid1(VALU_DEP_4)
	v_add_f64 v[4:5], v[80:81], v[4:5]
	v_add_f64 v[6:7], v[82:83], v[6:7]
	s_delay_alu instid0(VALU_DEP_4) | instskip(NEXT) | instid1(VALU_DEP_4)
	v_add_f64 v[12:13], v[250:251], v[12:13]
	v_add_f64 v[74:75], v[74:75], -v[230:231]
	v_mul_f64 v[82:83], v[48:49], s[16:17]
	v_mul_f64 v[48:49], v[48:49], s[0:1]
	v_add_f64 v[4:5], v[88:89], v[4:5]
	v_add_f64 v[80:81], v[90:91], v[6:7]
	v_mul_f64 v[88:89], v[206:207], s[20:21]
	v_mul_f64 v[90:91], v[198:199], s[20:21]
	v_add_f64 v[82:83], v[82:83], -v[238:239]
	v_add_f64 v[48:49], v[48:49], -v[50:51]
	v_mul_f64 v[50:51], v[206:207], s[18:19]
	v_add_f64 v[6:7], v[12:13], v[4:5]
	v_add_f64 v[4:5], v[74:75], v[80:81]
	v_mul_f64 v[12:13], v[182:183], s[12:13]
	v_mul_f64 v[74:75], v[34:35], s[12:13]
	;; [unrolled: 1-line block ×4, first 2 shown]
	v_add_f64 v[50:51], v[208:209], v[50:51]
	v_add_f64 v[88:89], v[254:255], v[88:89]
	v_add_f64 v[90:91], v[90:91], -v[244:245]
	v_add_f64 v[12:13], v[246:247], v[12:13]
	v_add_f64 v[74:75], v[74:75], -v[226:227]
	v_add_f64 v[34:35], v[34:35], -v[46:47]
	v_mul_f64 v[46:47], v[188:189], s[0:1]
	v_add_f64 v[80:81], v[252:253], v[80:81]
	v_add_f64 v[10:11], v[12:13], v[10:11]
	;; [unrolled: 1-line block ×7, first 2 shown]
	scratch_load_b64 v[8:9], off, off offset:476 ; 8-byte Folded Reload
	v_add_f64 v[46:47], v[190:191], v[46:47]
	v_add_f64 v[22:23], v[34:35], v[22:23]
	v_mul_f64 v[34:35], v[202:203], s[12:13]
	v_add_f64 v[10:11], v[80:81], v[10:11]
	v_add_f64 v[12:13], v[82:83], v[12:13]
	;; [unrolled: 1-line block ×5, first 2 shown]
	scratch_load_b64 v[26:27], off, off offset:460 ; 8-byte Folded Reload
	s_waitcnt vmcnt(2)
	v_add_f64 v[30:31], v[30:31], v[56:57]
	v_mul_f64 v[56:57], v[198:199], s[18:19]
	v_add_f64 v[20:21], v[46:47], v[20:21]
	v_add_f64 v[22:23], v[48:49], v[22:23]
	v_add_f64 v[34:35], v[34:35], -v[204:205]
	v_add_f64 v[10:11], v[88:89], v[10:11]
	v_add_f64 v[12:13], v[90:91], v[12:13]
	;; [unrolled: 1-line block ×6, first 2 shown]
	v_add_f64 v[56:57], v[56:57], -v[200:201]
	v_add_f64 v[20:21], v[50:51], v[20:21]
	v_add_f64 v[10:11], v[84:85], v[10:11]
	;; [unrolled: 1-line block ×5, first 2 shown]
	s_delay_alu instid0(VALU_DEP_2) | instskip(SKIP_1) | instid1(VALU_DEP_1)
	v_add_f64 v[28:29], v[30:31], v[60:61]
	v_mul_f64 v[30:31], v[212:213], s[12:13]
	v_add_f64 v[30:31], v[214:215], v[30:31]
	s_delay_alu instid0(VALU_DEP_1) | instskip(SKIP_4) | instid1(VALU_DEP_2)
	v_add_f64 v[22:23], v[30:31], v[20:21]
	v_add_f64 v[20:21], v[34:35], v[42:43]
	s_waitcnt vmcnt(0)
	v_add_f64 v[26:27], v[28:29], v[26:27]
	v_fma_f64 v[28:29], v[202:203], s[0:1], -v[54:55]
	v_add_f64 v[46:47], v[26:27], v[126:127]
	s_delay_alu instid0(VALU_DEP_2)
	v_add_f64 v[16:17], v[28:29], v[40:41]
	s_clause 0x1
	scratch_load_b32 v28, off, off offset:360
	scratch_load_b32 v29, off, off offset:356
	v_add_f64 v[24:25], v[24:25], v[8:9]
	v_add_f64 v[8:9], v[92:93], v[12:13]
	;; [unrolled: 1-line block ×3, first 2 shown]
	s_delay_alu instid0(VALU_DEP_3) | instskip(SKIP_4) | instid1(VALU_DEP_1)
	v_add_f64 v[26:27], v[24:25], v[32:33]
	v_add_f64 v[24:25], v[46:47], v[44:45]
	s_waitcnt vmcnt(1)
	v_mul_u32_u24_e32 v28, 0x42, v28
	s_waitcnt vmcnt(0)
	v_add_nc_u32_e32 v28, v28, v29
	scratch_load_b128 v[29:32], off, off offset:32 ; 16-byte Folded Reload
	v_lshl_add_u32 v28, v28, 4, v115
	s_waitcnt vmcnt(0)
	ds_store_b128 v28, v[29:32] offset:768
	scratch_load_b128 v[29:32], off, off    ; 16-byte Folded Reload
	s_waitcnt vmcnt(0)
	ds_store_b128 v28, v[29:32] offset:864
	ds_store_b128 v28, v[4:7] offset:192
	;; [unrolled: 1-line block ×5, first 2 shown]
	scratch_load_b128 v[4:7], off, off offset:48 ; 16-byte Folded Reload
	s_waitcnt vmcnt(0)
	ds_store_b128 v28, v[4:7] offset:672
	ds_store_b128 v28, v[0:3] offset:576
	;; [unrolled: 1-line block ×3, first 2 shown]
	ds_store_b128 v28, v[24:27]
	scratch_load_b128 v[0:3], off, off offset:16 ; 16-byte Folded Reload
	s_waitcnt vmcnt(0)
	ds_store_b128 v28, v[0:3] offset:960
.LBB0_5:
	s_or_b32 exec_lo, exec_lo, s33
	scratch_load_b32 v230, off, off offset:352 ; 4-byte Folded Reload
	s_waitcnt vmcnt(0) lgkmcnt(0)
	s_waitcnt_vscnt null, 0x0
	s_barrier
	buffer_gl0_inv
	scratch_load_b32 v95, off, off offset:584 ; 4-byte Folded Reload
	s_mov_b32 s12, 0xe8584caa
	s_mov_b32 s13, 0x3febb67a
	;; [unrolled: 1-line block ×4, first 2 shown]
	v_lshlrev_b32_e32 v24, 4, v230
	v_add_co_u32 v25, null, 0xc6, v230
	v_add_co_u32 v26, null, 0x108, v230
	global_load_b128 v[144:147], v24, s[10:11] offset:960
	s_waitcnt vmcnt(1)
	v_and_b32_e32 v0, 0xff, v95
	v_and_b32_e32 v1, 0xffff, v25
	v_add_co_u32 v27, null, 0x14a, v230
	s_delay_alu instid0(VALU_DEP_3) | instskip(NEXT) | instid1(VALU_DEP_3)
	v_mul_lo_u16 v0, 0xf9, v0
	v_mul_u32_u24_e32 v1, 0xf83f, v1
	s_delay_alu instid0(VALU_DEP_2) | instskip(NEXT) | instid1(VALU_DEP_2)
	v_lshrrev_b16 v0, 14, v0
	v_lshrrev_b32_e32 v1, 22, v1
	s_delay_alu instid0(VALU_DEP_2) | instskip(NEXT) | instid1(VALU_DEP_2)
	v_mul_lo_u16 v0, 0x42, v0
	v_mul_lo_u16 v1, 0x42, v1
	s_delay_alu instid0(VALU_DEP_2) | instskip(NEXT) | instid1(VALU_DEP_2)
	v_sub_nc_u16 v0, v95, v0
	v_sub_nc_u16 v1, v25, v1
	v_lshlrev_b32_e32 v25, 5, v25
	s_delay_alu instid0(VALU_DEP_3) | instskip(NEXT) | instid1(VALU_DEP_3)
	v_and_b32_e32 v0, 0xff, v0
	v_and_b32_e32 v1, 0xffff, v1
	s_delay_alu instid0(VALU_DEP_2) | instskip(NEXT) | instid1(VALU_DEP_2)
	v_lshlrev_b32_e32 v10, 4, v0
	v_lshlrev_b32_e32 v9, 4, v1
	v_and_b32_e32 v0, 0xffff, v26
	s_clause 0x1
	global_load_b128 v[44:47], v10, s[10:11] offset:960
	global_load_b128 v[48:51], v9, s[10:11] offset:960
	v_mul_u32_u24_e32 v8, 0xf83f, v0
	s_delay_alu instid0(VALU_DEP_1) | instskip(SKIP_1) | instid1(VALU_DEP_2)
	v_lshrrev_b32_e32 v0, 22, v8
	v_lshrrev_b32_e32 v8, 23, v8
	v_mul_lo_u16 v0, 0x42, v0
	s_delay_alu instid0(VALU_DEP_2) | instskip(NEXT) | instid1(VALU_DEP_2)
	v_mul_lo_u16 v8, 0x84, v8
	v_sub_nc_u16 v0, v26, v0
	s_delay_alu instid0(VALU_DEP_2) | instskip(NEXT) | instid1(VALU_DEP_2)
	v_sub_nc_u16 v92, v26, v8
	v_and_b32_e32 v0, 0xffff, v0
	s_delay_alu instid0(VALU_DEP_2) | instskip(NEXT) | instid1(VALU_DEP_2)
	v_lshlrev_b16 v8, 5, v92
	v_lshlrev_b32_e32 v11, 4, v0
	s_delay_alu instid0(VALU_DEP_2)
	v_and_b32_e32 v8, 0xffff, v8
	global_load_b128 v[52:55], v11, s[10:11] offset:960
	ds_load_b128 v[4:7], v107 offset:9504
	ds_load_b128 v[0:3], v107 offset:10560
	;; [unrolled: 1-line block ×6, first 2 shown]
	s_waitcnt vmcnt(3) lgkmcnt(5)
	v_mul_f64 v[36:37], v[4:5], v[146:147]
	s_waitcnt lgkmcnt(4)
	v_mul_f64 v[38:39], v[2:3], v[146:147]
	v_mul_f64 v[40:41], v[0:1], v[146:147]
	;; [unrolled: 1-line block ×3, first 2 shown]
	s_waitcnt vmcnt(2) lgkmcnt(2)
	v_mul_f64 v[42:43], v[19:20], v[46:47]
	scratch_store_b128 off, v[44:47], off offset:440 ; 16-byte Folded Spill
	s_waitcnt vmcnt(1)
	scratch_store_b128 off, v[48:51], off offset:460 ; 16-byte Folded Spill
	v_fma_f64 v[36:37], v[6:7], v[144:145], v[36:37]
	s_waitcnt lgkmcnt(1)
	v_mul_f64 v[6:7], v[30:31], v[50:51]
	v_fma_f64 v[38:39], v[0:1], v[144:145], -v[38:39]
	v_mul_f64 v[0:1], v[28:29], v[50:51]
	v_fma_f64 v[40:41], v[2:3], v[144:145], v[40:41]
	v_and_b32_e32 v2, 0xffff, v27
	v_fma_f64 v[21:22], v[4:5], v[144:145], -v[21:22]
	v_mul_f64 v[4:5], v[17:18], v[46:47]
	s_delay_alu instid0(VALU_DEP_3) | instskip(NEXT) | instid1(VALU_DEP_1)
	v_mul_u32_u24_e32 v16, 0xf83f, v2
	v_lshrrev_b32_e32 v2, 22, v16
	v_lshrrev_b32_e32 v16, 23, v16
	s_delay_alu instid0(VALU_DEP_2) | instskip(NEXT) | instid1(VALU_DEP_2)
	v_mul_lo_u16 v2, 0x42, v2
	v_mul_lo_u16 v16, 0x84, v16
	s_delay_alu instid0(VALU_DEP_2) | instskip(NEXT) | instid1(VALU_DEP_2)
	v_sub_nc_u16 v2, v27, v2
	v_sub_nc_u16 v94, v27, v16
	s_waitcnt vmcnt(0)
	scratch_store_b128 off, v[52:55], off offset:476 ; 16-byte Folded Spill
	v_and_b32_e32 v2, 0xffff, v2
	v_lshlrev_b16 v16, 5, v94
	s_delay_alu instid0(VALU_DEP_2)
	v_lshlrev_b32_e32 v23, 4, v2
	v_fma_f64 v[42:43], v[17:18], v[44:45], -v[42:43]
	s_waitcnt lgkmcnt(0)
	v_mul_f64 v[2:3], v[34:35], v[54:55]
	v_and_b32_e32 v16, 0xffff, v16
	v_fma_f64 v[46:47], v[28:29], v[48:49], -v[6:7]
	v_fma_f64 v[48:49], v[30:31], v[48:49], v[0:1]
	global_load_b128 v[28:31], v23, s[10:11] offset:960
	v_add_nc_u32_e32 v0, 0x18c, v230
	v_fma_f64 v[44:45], v[19:20], v[44:45], v[4:5]
	v_mul_f64 v[4:5], v[32:33], v[54:55]
	s_delay_alu instid0(VALU_DEP_3) | instskip(NEXT) | instid1(VALU_DEP_1)
	v_and_b32_e32 v1, 0xffff, v0
	v_mul_u32_u24_e32 v1, 0xf83f, v1
	s_delay_alu instid0(VALU_DEP_1) | instskip(NEXT) | instid1(VALU_DEP_1)
	v_lshrrev_b32_e32 v1, 22, v1
	v_mul_lo_u16 v1, 0x42, v1
	s_delay_alu instid0(VALU_DEP_1) | instskip(NEXT) | instid1(VALU_DEP_1)
	v_sub_nc_u16 v0, v0, v1
	v_and_b32_e32 v0, 0xffff, v0
	v_fma_f64 v[56:57], v[32:33], v[52:53], -v[2:3]
	s_delay_alu instid0(VALU_DEP_2)
	v_lshlrev_b32_e32 v88, 4, v0
	v_fma_f64 v[58:59], v[34:35], v[52:53], v[4:5]
	global_load_b128 v[32:35], v88, s[10:11] offset:960
	ds_load_b128 v[0:3], v107 offset:14784
	ds_load_b128 v[4:7], v107 offset:15840
	s_waitcnt vmcnt(1) lgkmcnt(1)
	v_mul_f64 v[17:18], v[2:3], v[30:31]
	scratch_store_b128 off, v[28:31], off offset:616 ; 16-byte Folded Spill
	v_fma_f64 v[60:61], v[0:1], v[28:29], -v[17:18]
	v_mul_f64 v[0:1], v[0:1], v[30:31]
	s_waitcnt vmcnt(0)
	scratch_store_b128 off, v[32:35], off offset:632 ; 16-byte Folded Spill
	v_fma_f64 v[62:63], v[2:3], v[28:29], v[0:1]
	s_waitcnt lgkmcnt(0)
	v_mul_f64 v[0:1], v[6:7], v[34:35]
	s_delay_alu instid0(VALU_DEP_1) | instskip(SKIP_1) | instid1(VALU_DEP_1)
	v_fma_f64 v[72:73], v[4:5], v[32:33], -v[0:1]
	v_mul_f64 v[0:1], v[4:5], v[34:35]
	v_fma_f64 v[74:75], v[6:7], v[32:33], v[0:1]
	v_add_nc_u32_e32 v0, 0x1ce, v230
	s_delay_alu instid0(VALU_DEP_1) | instskip(NEXT) | instid1(VALU_DEP_1)
	v_and_b32_e32 v1, 0xffff, v0
	v_mul_u32_u24_e32 v1, 0xf83f, v1
	s_delay_alu instid0(VALU_DEP_1) | instskip(NEXT) | instid1(VALU_DEP_1)
	v_lshrrev_b32_e32 v1, 22, v1
	v_mul_lo_u16 v1, 0x42, v1
	s_delay_alu instid0(VALU_DEP_1) | instskip(SKIP_1) | instid1(VALU_DEP_2)
	v_sub_nc_u16 v0, v0, v1
	v_add_nc_u32_e32 v1, 0x210, v230
	v_and_b32_e32 v0, 0xffff, v0
	s_delay_alu instid0(VALU_DEP_2) | instskip(NEXT) | instid1(VALU_DEP_2)
	v_and_b32_e32 v2, 0xffff, v1
	v_lshlrev_b32_e32 v89, 4, v0
	s_delay_alu instid0(VALU_DEP_2) | instskip(NEXT) | instid1(VALU_DEP_1)
	v_mul_u32_u24_e32 v2, 0xf83f, v2
	v_lshrrev_b32_e32 v2, 22, v2
	s_delay_alu instid0(VALU_DEP_1) | instskip(NEXT) | instid1(VALU_DEP_1)
	v_mul_lo_u16 v2, 0x42, v2
	v_sub_nc_u16 v1, v1, v2
	s_delay_alu instid0(VALU_DEP_1) | instskip(NEXT) | instid1(VALU_DEP_1)
	v_and_b32_e32 v1, 0xffff, v1
	v_lshlrev_b32_e32 v90, 4, v1
	s_clause 0x1
	global_load_b128 v[232:235], v89, s[10:11] offset:960
	global_load_b128 v[28:31], v90, s[10:11] offset:960
	ds_load_b128 v[0:3], v107 offset:16896
	ds_load_b128 v[4:7], v107 offset:17952
	s_waitcnt vmcnt(1) lgkmcnt(1)
	v_mul_f64 v[17:18], v[2:3], v[234:235]
	s_waitcnt vmcnt(0)
	scratch_store_b128 off, v[28:31], off offset:684 ; 16-byte Folded Spill
	v_fma_f64 v[76:77], v[0:1], v[232:233], -v[17:18]
	v_mul_f64 v[0:1], v[0:1], v[234:235]
	s_delay_alu instid0(VALU_DEP_1) | instskip(SKIP_2) | instid1(VALU_DEP_1)
	v_fma_f64 v[78:79], v[2:3], v[232:233], v[0:1]
	s_waitcnt lgkmcnt(0)
	v_mul_f64 v[0:1], v[6:7], v[30:31]
	v_fma_f64 v[80:81], v[4:5], v[28:29], -v[0:1]
	v_mul_f64 v[0:1], v[4:5], v[30:31]
	s_delay_alu instid0(VALU_DEP_2) | instskip(NEXT) | instid1(VALU_DEP_2)
	v_add_f64 v[84:85], v[12:13], -v[80:81]
	v_fma_f64 v[82:83], v[6:7], v[28:29], v[0:1]
	ds_load_b128 v[0:3], v107
	ds_load_b128 v[4:7], v107 offset:1056
	s_waitcnt lgkmcnt(1)
	v_add_f64 v[19:20], v[2:3], -v[36:37]
	s_waitcnt lgkmcnt(0)
	v_add_f64 v[28:29], v[4:5], -v[38:39]
	ds_load_b128 v[32:35], v107 offset:2112
	ds_load_b128 v[36:39], v107 offset:3168
	v_add_f64 v[30:31], v[6:7], -v[40:41]
	v_add_f64 v[17:18], v[0:1], -v[21:22]
	v_fma_f64 v[12:13], v[12:13], 2.0, -v[84:85]
	v_add_f64 v[86:87], v[14:15], -v[82:83]
	s_waitcnt lgkmcnt(1)
	v_add_f64 v[40:41], v[32:33], -v[42:43]
	v_add_f64 v[42:43], v[34:35], -v[44:45]
	s_waitcnt lgkmcnt(0)
	v_add_f64 v[44:45], v[36:37], -v[46:47]
	v_add_f64 v[46:47], v[38:39], -v[48:49]
	ds_load_b128 v[48:51], v107 offset:4224
	ds_load_b128 v[52:55], v107 offset:5280
	;; [unrolled: 1-line block ×4, first 2 shown]
	s_waitcnt lgkmcnt(0)
	s_waitcnt_vscnt null, 0x0
	s_barrier
	buffer_gl0_inv
	v_fma_f64 v[2:3], v[2:3], 2.0, -v[19:20]
	v_fma_f64 v[4:5], v[4:5], 2.0, -v[28:29]
	;; [unrolled: 1-line block ×4, first 2 shown]
	ds_store_b128 v107, v[17:20] offset:1056
	ds_store_b128 v107, v[0:3]
	ds_store_b128 v107, v[28:31] offset:3168
	ds_store_b128 v107, v[4:7] offset:2112
	v_add_f64 v[56:57], v[48:49], -v[56:57]
	v_add_f64 v[58:59], v[50:51], -v[58:59]
	;; [unrolled: 1-line block ×8, first 2 shown]
	v_fma_f64 v[32:33], v[32:33], 2.0, -v[40:41]
	v_fma_f64 v[34:35], v[34:35], 2.0, -v[42:43]
	;; [unrolled: 1-line block ×5, first 2 shown]
	v_add_nc_u32_e32 v0, v115, v10
	v_add_nc_u32_e32 v1, v115, v89
	v_lshlrev_b32_e32 v28, 5, v230
	ds_store_b128 v0, v[40:43] offset:5280
	s_clause 0x1
	scratch_store_b32 off, v0, off offset:540
	scratch_store_b32 off, v1, off offset:528
	v_fma_f64 v[48:49], v[48:49], 2.0, -v[56:57]
	v_fma_f64 v[50:51], v[50:51], 2.0, -v[58:59]
	;; [unrolled: 1-line block ×8, first 2 shown]
	ds_store_b128 v1, v[76:79] offset:15840
	ds_store_b128 v0, v[32:35] offset:4224
	v_add_nc_u32_e32 v0, v115, v9
	ds_store_b128 v0, v[44:47] offset:7392
	ds_store_b128 v0, v[36:39] offset:6336
	scratch_store_b32 off, v0, off offset:580 ; 4-byte Folded Spill
	v_add_nc_u32_e32 v0, v115, v11
	ds_store_b128 v0, v[56:59] offset:9504
	scratch_store_b32 off, v0, off offset:544 ; 4-byte Folded Spill
	ds_store_b128 v0, v[48:51] offset:8448
	v_add_nc_u32_e32 v0, v115, v23
	ds_store_b128 v0, v[60:63] offset:11616
	ds_store_b128 v0, v[52:55] offset:10560
	scratch_store_b32 off, v0, off offset:536 ; 4-byte Folded Spill
	v_add_nc_u32_e32 v0, v115, v88
	ds_store_b128 v0, v[72:75] offset:13728
	ds_store_b128 v0, v[64:67] offset:12672
	scratch_store_b32 off, v0, off offset:532 ; 4-byte Folded Spill
	;; [unrolled: 4-line block ×3, first 2 shown]
	ds_store_b128 v0, v[12:15] offset:16896
	s_waitcnt lgkmcnt(0)
	s_waitcnt_vscnt null, 0x0
	s_barrier
	buffer_gl0_inv
	s_clause 0x1
	global_load_b128 v[184:187], v28, s[10:11] offset:2016
	global_load_b128 v[252:255], v28, s[10:11] offset:2032
	ds_load_b128 v[0:3], v107 offset:6336
	ds_load_b128 v[9:12], v107 offset:7392
	s_waitcnt vmcnt(1) lgkmcnt(1)
	v_mul_f64 v[4:5], v[2:3], v[186:187]
	s_delay_alu instid0(VALU_DEP_1) | instskip(SKIP_1) | instid1(VALU_DEP_1)
	v_fma_f64 v[37:38], v[0:1], v[184:185], -v[4:5]
	v_mul_f64 v[0:1], v[0:1], v[186:187]
	v_fma_f64 v[39:40], v[2:3], v[184:185], v[0:1]
	ds_load_b128 v[0:3], v107 offset:12672
	ds_load_b128 v[17:20], v107 offset:13728
	s_waitcnt vmcnt(0) lgkmcnt(1)
	v_mul_f64 v[4:5], v[2:3], v[254:255]
	s_delay_alu instid0(VALU_DEP_1) | instskip(SKIP_1) | instid1(VALU_DEP_1)
	v_fma_f64 v[41:42], v[0:1], v[252:253], -v[4:5]
	v_mul_f64 v[0:1], v[0:1], v[254:255]
	v_fma_f64 v[43:44], v[2:3], v[252:253], v[0:1]
	scratch_load_b32 v0, off, off offset:492 ; 4-byte Folded Reload
	v_add_f64 v[55:56], v[39:40], v[43:44]
	s_waitcnt vmcnt(0)
	v_lshlrev_b32_e32 v93, 5, v0
	s_clause 0x1
	global_load_b128 v[4:7], v93, s[10:11] offset:2016
	global_load_b128 v[0:3], v93, s[10:11] offset:2032
	s_waitcnt vmcnt(1)
	v_mul_f64 v[13:14], v[11:12], v[6:7]
	s_delay_alu instid0(VALU_DEP_1) | instskip(SKIP_1) | instid1(VALU_DEP_1)
	v_fma_f64 v[45:46], v[9:10], v[4:5], -v[13:14]
	v_mul_f64 v[9:10], v[9:10], v[6:7]
	v_fma_f64 v[47:48], v[11:12], v[4:5], v[9:10]
	s_waitcnt vmcnt(0) lgkmcnt(0)
	v_mul_f64 v[9:10], v[19:20], v[2:3]
	s_delay_alu instid0(VALU_DEP_1) | instskip(SKIP_1) | instid1(VALU_DEP_1)
	v_fma_f64 v[49:50], v[17:18], v[0:1], -v[9:10]
	v_mul_f64 v[9:10], v[17:18], v[2:3]
	v_fma_f64 v[51:52], v[19:20], v[0:1], v[9:10]
	ds_load_b128 v[9:12], v107 offset:8448
	ds_load_b128 v[17:20], v107 offset:9504
	s_waitcnt lgkmcnt(1)
	v_mul_f64 v[13:14], v[11:12], v[186:187]
	s_delay_alu instid0(VALU_DEP_1) | instskip(SKIP_1) | instid1(VALU_DEP_1)
	v_fma_f64 v[61:62], v[9:10], v[184:185], -v[13:14]
	v_mul_f64 v[9:10], v[9:10], v[186:187]
	v_fma_f64 v[63:64], v[11:12], v[184:185], v[9:10]
	ds_load_b128 v[9:12], v107 offset:14784
	ds_load_b128 v[29:32], v107 offset:15840
	s_waitcnt lgkmcnt(1)
	v_mul_f64 v[13:14], v[11:12], v[254:255]
	s_delay_alu instid0(VALU_DEP_1) | instskip(SKIP_1) | instid1(VALU_DEP_2)
	v_fma_f64 v[65:66], v[9:10], v[252:253], -v[13:14]
	v_mul_f64 v[9:10], v[9:10], v[254:255]
	v_add_f64 v[77:78], v[61:62], v[65:66]
	s_delay_alu instid0(VALU_DEP_2) | instskip(SKIP_2) | instid1(VALU_DEP_1)
	v_fma_f64 v[67:68], v[11:12], v[252:253], v[9:10]
	v_mul_f64 v[9:10], v[19:20], v[6:7]
	v_add_co_u32 v12, s0, s10, v8
	v_add_co_ci_u32_e64 v13, null, s11, 0, s0
	v_add_co_u32 v16, s0, s10, v16
	v_add_f64 v[79:80], v[63:64], v[67:68]
	v_fma_f64 v[69:70], v[17:18], v[4:5], -v[9:10]
	v_mul_f64 v[9:10], v[17:18], v[6:7]
	s_delay_alu instid0(VALU_DEP_1) | instskip(SKIP_2) | instid1(VALU_DEP_1)
	v_fma_f64 v[71:72], v[19:20], v[4:5], v[9:10]
	s_waitcnt lgkmcnt(0)
	v_mul_f64 v[9:10], v[31:32], v[2:3]
	v_fma_f64 v[73:74], v[29:30], v[0:1], -v[9:10]
	v_mul_f64 v[9:10], v[29:30], v[2:3]
	s_delay_alu instid0(VALU_DEP_1)
	v_fma_f64 v[75:76], v[31:32], v[0:1], v[9:10]
	s_clause 0x1
	global_load_b128 v[8:11], v[12:13], off offset:2016
	global_load_b128 v[12:15], v[12:13], off offset:2032
	ds_load_b128 v[17:20], v107 offset:10560
	ds_load_b128 v[29:32], v107 offset:11616
	s_waitcnt vmcnt(1) lgkmcnt(1)
	v_mul_f64 v[21:22], v[19:20], v[10:11]
	s_delay_alu instid0(VALU_DEP_1) | instskip(SKIP_1) | instid1(VALU_DEP_1)
	v_fma_f64 v[81:82], v[17:18], v[8:9], -v[21:22]
	v_mul_f64 v[17:18], v[17:18], v[10:11]
	v_fma_f64 v[88:89], v[19:20], v[8:9], v[17:18]
	ds_load_b128 v[17:20], v107 offset:16896
	ds_load_b128 v[33:36], v107 offset:17952
	s_waitcnt vmcnt(0) lgkmcnt(1)
	v_mul_f64 v[21:22], v[19:20], v[14:15]
	s_delay_alu instid0(VALU_DEP_1) | instskip(SKIP_1) | instid1(VALU_DEP_2)
	v_fma_f64 v[90:91], v[17:18], v[12:13], -v[21:22]
	v_mul_f64 v[17:18], v[17:18], v[14:15]
	v_add_f64 v[99:100], v[81:82], v[90:91]
	s_delay_alu instid0(VALU_DEP_2)
	v_fma_f64 v[97:98], v[19:20], v[12:13], v[17:18]
	v_add_co_ci_u32_e64 v17, null, s11, 0, s0
	s_clause 0x1
	global_load_b128 v[20:23], v[16:17], off offset:2016
	global_load_b128 v[16:19], v[16:17], off offset:2032
	s_waitcnt vmcnt(1)
	v_mul_f64 v[53:54], v[31:32], v[22:23]
	s_delay_alu instid0(VALU_DEP_1) | instskip(SKIP_2) | instid1(VALU_DEP_2)
	v_fma_f64 v[108:109], v[29:30], v[20:21], -v[53:54]
	v_mul_f64 v[29:30], v[29:30], v[22:23]
	v_add_f64 v[53:54], v[37:38], v[41:42]
	v_fma_f64 v[111:112], v[31:32], v[20:21], v[29:30]
	s_waitcnt vmcnt(0) lgkmcnt(0)
	v_mul_f64 v[29:30], v[35:36], v[18:19]
	s_delay_alu instid0(VALU_DEP_1) | instskip(SKIP_1) | instid1(VALU_DEP_1)
	v_fma_f64 v[113:114], v[33:34], v[16:17], -v[29:30]
	v_mul_f64 v[29:30], v[33:34], v[18:19]
	v_fma_f64 v[120:121], v[35:36], v[16:17], v[29:30]
	ds_load_b128 v[29:32], v107
	ds_load_b128 v[33:36], v107 offset:1056
	s_waitcnt lgkmcnt(1)
	v_fma_f64 v[55:56], v[55:56], -0.5, v[31:32]
	v_add_f64 v[31:32], v[31:32], v[39:40]
	v_fma_f64 v[53:54], v[53:54], -0.5, v[29:30]
	v_add_f64 v[29:30], v[29:30], v[37:38]
	v_add_f64 v[39:40], v[39:40], -v[43:44]
	s_delay_alu instid0(VALU_DEP_4) | instskip(SKIP_1) | instid1(VALU_DEP_4)
	v_add_f64 v[31:32], v[31:32], v[43:44]
	v_add_f64 v[43:44], v[37:38], -v[41:42]
	v_add_f64 v[29:30], v[29:30], v[41:42]
	s_delay_alu instid0(VALU_DEP_4)
	v_fma_f64 v[37:38], v[39:40], s[12:13], v[53:54]
	v_fma_f64 v[41:42], v[39:40], s[14:15], v[53:54]
	v_add_f64 v[53:54], v[45:46], v[49:50]
	v_fma_f64 v[39:40], v[43:44], s[14:15], v[55:56]
	v_fma_f64 v[43:44], v[43:44], s[12:13], v[55:56]
	v_add_f64 v[55:56], v[47:48], v[51:52]
	s_waitcnt lgkmcnt(0)
	s_delay_alu instid0(VALU_DEP_4) | instskip(SKIP_1) | instid1(VALU_DEP_3)
	v_fma_f64 v[53:54], v[53:54], -0.5, v[33:34]
	v_add_f64 v[33:34], v[33:34], v[45:46]
	v_fma_f64 v[55:56], v[55:56], -0.5, v[35:36]
	v_add_f64 v[35:36], v[35:36], v[47:48]
	v_add_f64 v[47:48], v[47:48], -v[51:52]
	s_delay_alu instid0(VALU_DEP_4) | instskip(NEXT) | instid1(VALU_DEP_3)
	v_add_f64 v[33:34], v[33:34], v[49:50]
	v_add_f64 v[35:36], v[35:36], v[51:52]
	v_add_f64 v[51:52], v[45:46], -v[49:50]
	s_delay_alu instid0(VALU_DEP_4) | instskip(SKIP_1) | instid1(VALU_DEP_3)
	v_fma_f64 v[45:46], v[47:48], s[12:13], v[53:54]
	v_fma_f64 v[49:50], v[47:48], s[14:15], v[53:54]
	;; [unrolled: 1-line block ×4, first 2 shown]
	ds_load_b128 v[53:56], v107 offset:2112
	ds_load_b128 v[57:60], v107 offset:3168
	s_waitcnt lgkmcnt(1)
	v_fma_f64 v[79:80], v[79:80], -0.5, v[55:56]
	v_add_f64 v[55:56], v[55:56], v[63:64]
	v_fma_f64 v[77:78], v[77:78], -0.5, v[53:54]
	v_add_f64 v[53:54], v[53:54], v[61:62]
	v_add_f64 v[63:64], v[63:64], -v[67:68]
	s_delay_alu instid0(VALU_DEP_4) | instskip(SKIP_1) | instid1(VALU_DEP_4)
	v_add_f64 v[55:56], v[55:56], v[67:68]
	v_add_f64 v[67:68], v[61:62], -v[65:66]
	v_add_f64 v[53:54], v[53:54], v[65:66]
	s_delay_alu instid0(VALU_DEP_4)
	v_fma_f64 v[61:62], v[63:64], s[12:13], v[77:78]
	v_fma_f64 v[65:66], v[63:64], s[14:15], v[77:78]
	v_add_f64 v[77:78], v[69:70], v[73:74]
	v_fma_f64 v[63:64], v[67:68], s[14:15], v[79:80]
	v_fma_f64 v[67:68], v[67:68], s[12:13], v[79:80]
	v_add_f64 v[79:80], v[71:72], v[75:76]
	s_waitcnt lgkmcnt(0)
	s_delay_alu instid0(VALU_DEP_4) | instskip(SKIP_1) | instid1(VALU_DEP_3)
	v_fma_f64 v[77:78], v[77:78], -0.5, v[57:58]
	v_add_f64 v[57:58], v[57:58], v[69:70]
	v_fma_f64 v[79:80], v[79:80], -0.5, v[59:60]
	v_add_f64 v[59:60], v[59:60], v[71:72]
	v_add_f64 v[71:72], v[71:72], -v[75:76]
	s_delay_alu instid0(VALU_DEP_4) | instskip(NEXT) | instid1(VALU_DEP_3)
	v_add_f64 v[57:58], v[57:58], v[73:74]
	v_add_f64 v[59:60], v[59:60], v[75:76]
	v_add_f64 v[75:76], v[69:70], -v[73:74]
	s_delay_alu instid0(VALU_DEP_4) | instskip(SKIP_1) | instid1(VALU_DEP_3)
	v_fma_f64 v[69:70], v[71:72], s[12:13], v[77:78]
	v_fma_f64 v[73:74], v[71:72], s[14:15], v[77:78]
	;; [unrolled: 1-line block ×4, first 2 shown]
	ds_load_b128 v[77:80], v107 offset:4224
	ds_load_b128 v[84:87], v107 offset:5280
	s_waitcnt lgkmcnt(0)
	s_barrier
	buffer_gl0_inv
	ds_store_b128 v107, v[29:32]
	ds_store_b128 v107, v[33:36] offset:1056
	ds_store_b128 v107, v[53:56] offset:6336
	;; [unrolled: 1-line block ×11, first 2 shown]
	v_fma_f64 v[103:104], v[99:100], -0.5, v[77:78]
	v_add_f64 v[99:100], v[88:89], v[97:98]
	v_add_f64 v[77:78], v[77:78], v[81:82]
	v_and_b32_e32 v29, 0xffff, v92
	v_add_co_u32 v30, s0, s10, v28
	s_delay_alu instid0(VALU_DEP_1) | instskip(NEXT) | instid1(VALU_DEP_3)
	v_add_co_ci_u32_e64 v31, null, s11, 0, s0
	v_lshl_add_u32 v92, v29, 4, v115
	v_and_b32_e32 v29, 0xffff, v94
	s_delay_alu instid0(VALU_DEP_4) | instskip(NEXT) | instid1(VALU_DEP_2)
	v_add_co_u32 v28, s0, 0x1000, v30
	v_lshl_add_u32 v231, v29, 4, v115
	v_add_co_ci_u32_e64 v29, s0, 0, v31, s0
	v_add_co_u32 v30, s0, 0x1860, v30
	s_delay_alu instid0(VALU_DEP_1) | instskip(SKIP_3) | instid1(VALU_DEP_2)
	v_add_co_ci_u32_e64 v31, s0, 0, v31, s0
	v_fma_f64 v[118:119], v[99:100], -0.5, v[79:80]
	v_add_f64 v[79:80], v[79:80], v[88:89]
	v_add_f64 v[88:89], v[88:89], -v[97:98]
	v_add_f64 v[99:100], v[79:80], v[97:98]
	v_add_f64 v[97:98], v[77:78], v[90:91]
	v_add_f64 v[77:78], v[81:82], -v[90:91]
	s_delay_alu instid0(VALU_DEP_4)
	v_fma_f64 v[101:102], v[88:89], s[12:13], v[103:104]
	v_fma_f64 v[116:117], v[88:89], s[14:15], v[103:104]
	v_add_f64 v[79:80], v[111:112], v[120:121]
	v_add_f64 v[81:82], v[86:87], v[111:112]
	v_add_f64 v[88:89], v[111:112], -v[120:121]
	v_fma_f64 v[103:104], v[77:78], s[14:15], v[118:119]
	v_fma_f64 v[118:119], v[77:78], s[12:13], v[118:119]
	v_add_f64 v[77:78], v[108:109], v[113:114]
	v_fma_f64 v[79:80], v[79:80], -0.5, v[86:87]
	v_add_f64 v[86:87], v[81:82], v[120:121]
	v_add_f64 v[81:82], v[108:109], -v[113:114]
	ds_store_b128 v92, v[97:100] offset:12672
	ds_store_b128 v92, v[101:104] offset:14784
	v_fma_f64 v[77:78], v[77:78], -0.5, v[84:85]
	v_add_f64 v[83:84], v[84:85], v[108:109]
	v_fma_f64 v[174:175], v[81:82], s[14:15], v[79:80]
	v_fma_f64 v[178:179], v[81:82], s[12:13], v[79:80]
	s_delay_alu instid0(VALU_DEP_4) | instskip(NEXT) | instid1(VALU_DEP_4)
	v_fma_f64 v[172:173], v[88:89], s[12:13], v[77:78]
	v_add_f64 v[84:85], v[83:84], v[113:114]
	v_fma_f64 v[176:177], v[88:89], s[14:15], v[77:78]
	ds_store_b128 v92, v[116:119] offset:16896
	ds_store_b128 v231, v[84:87] offset:12672
	;; [unrolled: 1-line block ×4, first 2 shown]
	s_waitcnt lgkmcnt(0)
	s_barrier
	buffer_gl0_inv
	s_clause 0x1
	global_load_b128 v[42:45], v[28:29], off offset:2144
	global_load_b128 v[46:49], v[30:31], off offset:16
	ds_load_b128 v[28:31], v107 offset:6336
	ds_load_b128 v[32:35], v107 offset:7392
	s_waitcnt vmcnt(1) lgkmcnt(1)
	v_mul_f64 v[36:37], v[30:31], v[44:45]
	scratch_store_b128 off, v[42:45], off offset:508 ; 16-byte Folded Spill
	v_fma_f64 v[40:41], v[28:29], v[42:43], -v[36:37]
	v_mul_f64 v[28:29], v[28:29], v[44:45]
	s_delay_alu instid0(VALU_DEP_1)
	v_fma_f64 v[42:43], v[30:31], v[42:43], v[28:29]
	ds_load_b128 v[28:31], v107 offset:12672
	ds_load_b128 v[36:39], v107 offset:13728
	s_waitcnt vmcnt(0)
	scratch_store_b128 off, v[46:49], off offset:492 ; 16-byte Folded Spill
	s_waitcnt lgkmcnt(1)
	v_mul_f64 v[44:45], v[30:31], v[48:49]
	s_delay_alu instid0(VALU_DEP_1) | instskip(SKIP_1) | instid1(VALU_DEP_1)
	v_fma_f64 v[44:45], v[28:29], v[46:47], -v[44:45]
	v_mul_f64 v[28:29], v[28:29], v[48:49]
	v_fma_f64 v[46:47], v[30:31], v[46:47], v[28:29]
	v_add_co_u32 v30, s0, s10, v93
	s_delay_alu instid0(VALU_DEP_1) | instskip(NEXT) | instid1(VALU_DEP_2)
	v_add_co_ci_u32_e64 v31, null, s11, 0, s0
	v_add_co_u32 v28, s0, 0x1000, v30
	s_delay_alu instid0(VALU_DEP_1) | instskip(SKIP_1) | instid1(VALU_DEP_1)
	v_add_co_ci_u32_e64 v29, s0, 0, v31, s0
	v_add_co_u32 v30, s0, 0x1860, v30
	v_add_co_ci_u32_e64 v31, s0, 0, v31, s0
	s_clause 0x1
	global_load_b128 v[50:53], v[28:29], off offset:2144
	global_load_b128 v[54:57], v[30:31], off offset:16
	s_waitcnt vmcnt(1)
	v_mul_f64 v[28:29], v[34:35], v[52:53]
	scratch_store_b128 off, v[50:53], off offset:564 ; 16-byte Folded Spill
	s_waitcnt vmcnt(0)
	scratch_store_b128 off, v[54:57], off offset:548 ; 16-byte Folded Spill
	v_fma_f64 v[48:49], v[32:33], v[50:51], -v[28:29]
	v_mul_f64 v[28:29], v[32:33], v[52:53]
	s_delay_alu instid0(VALU_DEP_1) | instskip(SKIP_2) | instid1(VALU_DEP_1)
	v_fma_f64 v[50:51], v[34:35], v[50:51], v[28:29]
	s_waitcnt lgkmcnt(0)
	v_mul_f64 v[28:29], v[38:39], v[56:57]
	v_fma_f64 v[52:53], v[36:37], v[54:55], -v[28:29]
	v_mul_f64 v[28:29], v[36:37], v[56:57]
	s_delay_alu instid0(VALU_DEP_1) | instskip(SKIP_1) | instid1(VALU_DEP_1)
	v_fma_f64 v[54:55], v[38:39], v[54:55], v[28:29]
	v_lshlrev_b32_e32 v28, 5, v95
	v_add_co_u32 v30, s0, s10, v28
	s_delay_alu instid0(VALU_DEP_1) | instskip(NEXT) | instid1(VALU_DEP_2)
	v_add_co_ci_u32_e64 v31, null, s11, 0, s0
	v_add_co_u32 v28, s0, 0x1000, v30
	s_delay_alu instid0(VALU_DEP_1) | instskip(SKIP_1) | instid1(VALU_DEP_1)
	v_add_co_ci_u32_e64 v29, s0, 0, v31, s0
	v_add_co_u32 v30, s0, 0x1860, v30
	v_add_co_ci_u32_e64 v31, s0, 0, v31, s0
	s_clause 0x1
	global_load_b128 v[59:62], v[28:29], off offset:2144
	global_load_b128 v[63:66], v[30:31], off offset:16
	ds_load_b128 v[28:31], v107 offset:8448
	ds_load_b128 v[32:35], v107 offset:9504
	v_add_co_u32 v25, s0, s10, v25
	s_waitcnt vmcnt(1) lgkmcnt(1)
	v_mul_f64 v[36:37], v[30:31], v[61:62]
	scratch_store_b128 off, v[59:62], off offset:600 ; 16-byte Folded Spill
	v_fma_f64 v[57:58], v[28:29], v[59:60], -v[36:37]
	v_mul_f64 v[28:29], v[28:29], v[61:62]
	s_delay_alu instid0(VALU_DEP_1)
	v_fma_f64 v[59:60], v[30:31], v[59:60], v[28:29]
	ds_load_b128 v[28:31], v107 offset:14784
	ds_load_b128 v[36:39], v107 offset:15840
	s_waitcnt vmcnt(0)
	scratch_store_b128 off, v[63:66], off offset:584 ; 16-byte Folded Spill
	s_waitcnt lgkmcnt(1)
	v_mul_f64 v[61:62], v[30:31], v[65:66]
	s_delay_alu instid0(VALU_DEP_1) | instskip(SKIP_1) | instid1(VALU_DEP_1)
	v_fma_f64 v[61:62], v[28:29], v[63:64], -v[61:62]
	v_mul_f64 v[28:29], v[28:29], v[65:66]
	v_fma_f64 v[63:64], v[30:31], v[63:64], v[28:29]
	v_add_co_ci_u32_e64 v31, null, s11, 0, s0
	v_add_co_u32 v28, s0, 0x1000, v25
	s_delay_alu instid0(VALU_DEP_1) | instskip(SKIP_1) | instid1(VALU_DEP_1)
	v_add_co_ci_u32_e64 v29, s0, 0, v31, s0
	v_add_co_u32 v30, s0, 0x1860, v25
	v_add_co_ci_u32_e64 v31, s0, 0, v31, s0
	s_clause 0x1
	global_load_b128 v[67:70], v[28:29], off offset:2144
	global_load_b128 v[71:74], v[30:31], off offset:16
	v_lshlrev_b32_e32 v25, 5, v26
	v_add_f64 v[75:76], v[59:60], v[63:64]
	s_waitcnt vmcnt(1)
	v_mul_f64 v[28:29], v[34:35], v[69:70]
	scratch_store_b128 off, v[67:70], off offset:668 ; 16-byte Folded Spill
	s_waitcnt vmcnt(0)
	scratch_store_b128 off, v[71:74], off offset:652 ; 16-byte Folded Spill
	v_fma_f64 v[65:66], v[32:33], v[67:68], -v[28:29]
	v_mul_f64 v[28:29], v[32:33], v[69:70]
	s_delay_alu instid0(VALU_DEP_1) | instskip(SKIP_2) | instid1(VALU_DEP_1)
	v_fma_f64 v[67:68], v[34:35], v[67:68], v[28:29]
	s_waitcnt lgkmcnt(0)
	v_mul_f64 v[28:29], v[38:39], v[73:74]
	v_fma_f64 v[69:70], v[36:37], v[71:72], -v[28:29]
	v_mul_f64 v[28:29], v[36:37], v[73:74]
	s_delay_alu instid0(VALU_DEP_1) | instskip(SKIP_1) | instid1(VALU_DEP_1)
	v_fma_f64 v[71:72], v[38:39], v[71:72], v[28:29]
	v_add_co_u32 v28, s0, s10, v25
	v_add_co_ci_u32_e64 v29, null, s11, 0, s0
	s_delay_alu instid0(VALU_DEP_2) | instskip(NEXT) | instid1(VALU_DEP_1)
	v_add_co_u32 v25, s0, 0x1000, v28
	v_add_co_ci_u32_e64 v26, s0, 0, v29, s0
	v_add_co_u32 v28, s0, 0x1860, v28
	s_delay_alu instid0(VALU_DEP_1)
	v_add_co_ci_u32_e64 v29, s0, 0, v29, s0
	s_clause 0x1
	global_load_b128 v[240:243], v[25:26], off offset:2144
	global_load_b128 v[236:239], v[28:29], off offset:16
	ds_load_b128 v[28:31], v107 offset:10560
	ds_load_b128 v[32:35], v107 offset:11616
	s_waitcnt vmcnt(1) lgkmcnt(1)
	v_mul_f64 v[25:26], v[30:31], v[242:243]
	s_delay_alu instid0(VALU_DEP_1) | instskip(SKIP_1) | instid1(VALU_DEP_1)
	v_fma_f64 v[77:78], v[28:29], v[240:241], -v[25:26]
	v_mul_f64 v[25:26], v[28:29], v[242:243]
	v_fma_f64 v[79:80], v[30:31], v[240:241], v[25:26]
	ds_load_b128 v[28:31], v107 offset:16896
	ds_load_b128 v[36:39], v107 offset:17952
	s_waitcnt vmcnt(0) lgkmcnt(1)
	v_mul_f64 v[25:26], v[30:31], v[238:239]
	s_delay_alu instid0(VALU_DEP_1) | instskip(SKIP_1) | instid1(VALU_DEP_2)
	v_fma_f64 v[81:82], v[28:29], v[236:237], -v[25:26]
	v_mul_f64 v[25:26], v[28:29], v[238:239]
	v_add_f64 v[97:98], v[77:78], v[81:82]
	s_delay_alu instid0(VALU_DEP_2) | instskip(SKIP_1) | instid1(VALU_DEP_1)
	v_fma_f64 v[88:89], v[30:31], v[236:237], v[25:26]
	v_lshlrev_b32_e32 v25, 5, v27
	v_add_co_u32 v27, s0, s10, v25
	s_delay_alu instid0(VALU_DEP_1) | instskip(NEXT) | instid1(VALU_DEP_2)
	v_add_co_ci_u32_e64 v28, null, s11, 0, s0
	v_add_co_u32 v25, s0, 0x1000, v27
	s_delay_alu instid0(VALU_DEP_1) | instskip(SKIP_1) | instid1(VALU_DEP_1)
	v_add_co_ci_u32_e64 v26, s0, 0, v28, s0
	v_add_co_u32 v27, s0, 0x1860, v27
	v_add_co_ci_u32_e64 v28, s0, 0, v28, s0
	s_clause 0x1
	global_load_b128 v[244:247], v[25:26], off offset:2144
	global_load_b128 v[248:251], v[27:28], off offset:16
	s_waitcnt vmcnt(1)
	v_mul_f64 v[25:26], v[34:35], v[246:247]
	s_delay_alu instid0(VALU_DEP_1) | instskip(SKIP_1) | instid1(VALU_DEP_1)
	v_fma_f64 v[90:91], v[32:33], v[244:245], -v[25:26]
	v_mul_f64 v[25:26], v[32:33], v[246:247]
	v_fma_f64 v[111:112], v[34:35], v[244:245], v[25:26]
	s_waitcnt vmcnt(0) lgkmcnt(0)
	v_mul_f64 v[25:26], v[38:39], v[250:251]
	v_add_f64 v[33:34], v[40:41], v[44:45]
	s_delay_alu instid0(VALU_DEP_2) | instskip(SKIP_1) | instid1(VALU_DEP_1)
	v_fma_f64 v[113:114], v[36:37], v[248:249], -v[25:26]
	v_mul_f64 v[25:26], v[36:37], v[250:251]
	v_fma_f64 v[115:116], v[38:39], v[248:249], v[25:26]
	ds_load_b128 v[25:28], v107
	ds_load_b128 v[29:32], v107 offset:1056
	v_add_f64 v[37:38], v[42:43], -v[46:47]
	s_waitcnt lgkmcnt(1)
	v_fma_f64 v[35:36], v[33:34], -0.5, v[25:26]
	v_add_f64 v[33:34], v[42:43], v[46:47]
	v_add_f64 v[25:26], v[25:26], v[40:41]
	v_add_f64 v[39:40], v[40:41], -v[44:45]
	s_delay_alu instid0(VALU_DEP_3)
	v_fma_f64 v[73:74], v[33:34], -0.5, v[27:28]
	v_add_f64 v[27:28], v[27:28], v[42:43]
	v_add_f64 v[41:42], v[48:49], v[52:53]
	;; [unrolled: 1-line block ×3, first 2 shown]
	v_fma_f64 v[33:34], v[37:38], s[12:13], v[35:36]
	v_fma_f64 v[37:38], v[37:38], s[14:15], v[35:36]
	;; [unrolled: 1-line block ×4, first 2 shown]
	s_waitcnt lgkmcnt(0)
	v_fma_f64 v[43:44], v[41:42], -0.5, v[29:30]
	v_add_f64 v[41:42], v[50:51], v[54:55]
	v_add_f64 v[29:30], v[29:30], v[48:49]
	v_add_f64 v[27:28], v[27:28], v[46:47]
	v_add_f64 v[45:46], v[50:51], -v[54:55]
	v_add_f64 v[47:48], v[48:49], -v[52:53]
	v_fma_f64 v[73:74], v[41:42], -0.5, v[31:32]
	v_add_f64 v[31:32], v[31:32], v[50:51]
	v_add_f64 v[29:30], v[29:30], v[52:53]
	v_fma_f64 v[41:42], v[45:46], s[12:13], v[43:44]
	v_fma_f64 v[45:46], v[45:46], s[14:15], v[43:44]
	;; [unrolled: 1-line block ×3, first 2 shown]
	v_add_f64 v[31:32], v[31:32], v[54:55]
	ds_load_b128 v[49:52], v107 offset:2112
	ds_load_b128 v[53:56], v107 offset:3168
	v_fma_f64 v[47:48], v[47:48], s[12:13], v[73:74]
	v_add_f64 v[73:74], v[57:58], v[61:62]
	s_waitcnt lgkmcnt(1)
	v_fma_f64 v[75:76], v[75:76], -0.5, v[51:52]
	v_add_f64 v[51:52], v[51:52], v[59:60]
	v_add_f64 v[59:60], v[59:60], -v[63:64]
	s_delay_alu instid0(VALU_DEP_4) | instskip(SKIP_1) | instid1(VALU_DEP_4)
	v_fma_f64 v[73:74], v[73:74], -0.5, v[49:50]
	v_add_f64 v[49:50], v[49:50], v[57:58]
	v_add_f64 v[51:52], v[51:52], v[63:64]
	v_add_f64 v[63:64], v[57:58], -v[61:62]
	s_delay_alu instid0(VALU_DEP_4) | instskip(NEXT) | instid1(VALU_DEP_4)
	v_fma_f64 v[57:58], v[59:60], s[12:13], v[73:74]
	v_add_f64 v[49:50], v[49:50], v[61:62]
	v_fma_f64 v[61:62], v[59:60], s[14:15], v[73:74]
	v_add_f64 v[73:74], v[65:66], v[69:70]
	v_fma_f64 v[59:60], v[63:64], s[14:15], v[75:76]
	v_fma_f64 v[63:64], v[63:64], s[12:13], v[75:76]
	v_add_f64 v[75:76], v[67:68], v[71:72]
	s_waitcnt lgkmcnt(0)
	s_delay_alu instid0(VALU_DEP_4) | instskip(SKIP_1) | instid1(VALU_DEP_3)
	v_fma_f64 v[73:74], v[73:74], -0.5, v[53:54]
	v_add_f64 v[53:54], v[53:54], v[65:66]
	v_fma_f64 v[75:76], v[75:76], -0.5, v[55:56]
	v_add_f64 v[55:56], v[55:56], v[67:68]
	v_add_f64 v[67:68], v[67:68], -v[71:72]
	s_delay_alu instid0(VALU_DEP_4) | instskip(NEXT) | instid1(VALU_DEP_3)
	v_add_f64 v[53:54], v[53:54], v[69:70]
	v_add_f64 v[55:56], v[55:56], v[71:72]
	v_add_f64 v[71:72], v[65:66], -v[69:70]
	s_delay_alu instid0(VALU_DEP_4) | instskip(SKIP_1) | instid1(VALU_DEP_3)
	v_fma_f64 v[65:66], v[67:68], s[12:13], v[73:74]
	v_fma_f64 v[69:70], v[67:68], s[14:15], v[73:74]
	;; [unrolled: 1-line block ×4, first 2 shown]
	ds_load_b128 v[73:76], v107 offset:4224
	ds_load_b128 v[84:87], v107 offset:5280
	s_waitcnt lgkmcnt(1)
	v_fma_f64 v[99:100], v[97:98], -0.5, v[73:74]
	v_add_f64 v[97:98], v[79:80], v[88:89]
	v_add_f64 v[73:74], v[73:74], v[77:78]
	v_add_f64 v[77:78], v[77:78], -v[81:82]
	s_delay_alu instid0(VALU_DEP_3)
	v_fma_f64 v[103:104], v[97:98], -0.5, v[75:76]
	v_add_f64 v[75:76], v[75:76], v[79:80]
	v_add_f64 v[79:80], v[79:80], -v[88:89]
	v_add_f64 v[73:74], v[73:74], v[81:82]
	s_waitcnt lgkmcnt(0)
	v_add_f64 v[81:82], v[86:87], v[111:112]
	s_delay_alu instid0(VALU_DEP_4) | instskip(NEXT) | instid1(VALU_DEP_4)
	v_add_f64 v[75:76], v[75:76], v[88:89]
	v_fma_f64 v[97:98], v[79:80], s[12:13], v[99:100]
	v_fma_f64 v[101:102], v[79:80], s[14:15], v[99:100]
	;; [unrolled: 1-line block ×4, first 2 shown]
	v_add_f64 v[77:78], v[90:91], v[113:114]
	v_add_f64 v[79:80], v[111:112], v[115:116]
	v_add_f64 v[88:89], v[111:112], -v[115:116]
	s_delay_alu instid0(VALU_DEP_3) | instskip(SKIP_1) | instid1(VALU_DEP_4)
	v_fma_f64 v[77:78], v[77:78], -0.5, v[84:85]
	v_add_f64 v[83:84], v[84:85], v[90:91]
	v_fma_f64 v[79:80], v[79:80], -0.5, v[86:87]
	v_add_f64 v[86:87], v[81:82], v[115:116]
	v_add_f64 v[81:82], v[90:91], -v[113:114]
	v_fma_f64 v[116:117], v[88:89], s[12:13], v[77:78]
	v_add_f64 v[84:85], v[83:84], v[113:114]
	ds_store_b128 v107, v[25:28]
	ds_store_b128 v107, v[29:32] offset:1056
	ds_store_b128 v107, v[49:52] offset:2112
	;; [unrolled: 1-line block ×9, first 2 shown]
	scratch_load_b32 v25, off, off offset:456 ; 4-byte Folded Reload
	v_fma_f64 v[118:119], v[81:82], s[14:15], v[79:80]
	v_fma_f64 v[172:173], v[88:89], s[14:15], v[77:78]
	;; [unrolled: 1-line block ×3, first 2 shown]
	v_add_co_u32 v26, s0, s8, v24
	s_delay_alu instid0(VALU_DEP_1) | instskip(NEXT) | instid1(VALU_DEP_2)
	v_add_co_ci_u32_e64 v27, null, s9, 0, s0
	v_add_co_u32 v24, s0, 0x4000, v26
	s_waitcnt vmcnt(0)
	v_lshl_add_u32 v93, v122, 4, v25
	s_delay_alu instid0(VALU_DEP_3) | instskip(SKIP_1) | instid1(VALU_DEP_1)
	v_add_co_ci_u32_e64 v25, s0, 0, v27, s0
	v_add_co_u32 v80, s0, 0x4a40, v26
	v_add_co_ci_u32_e64 v81, s0, 0, v27, s0
	ds_store_b128 v93, v[57:60] offset:8448
	ds_store_b128 v93, v[65:68] offset:9504
	;; [unrolled: 1-line block ×8, first 2 shown]
	s_waitcnt lgkmcnt(0)
	s_waitcnt_vscnt null, 0x0
	s_barrier
	buffer_gl0_inv
	s_clause 0x1
	global_load_b128 v[28:31], v[24:25], off offset:2624
	global_load_b128 v[32:35], v[80:81], off offset:3168
	ds_load_b128 v[36:39], v107
	ds_load_b128 v[40:43], v107 offset:1056
	s_waitcnt vmcnt(1) lgkmcnt(1)
	v_mul_f64 v[24:25], v[38:39], v[30:31]
	v_mul_f64 v[30:31], v[36:37], v[30:31]
	s_delay_alu instid0(VALU_DEP_2) | instskip(NEXT) | instid1(VALU_DEP_2)
	v_fma_f64 v[36:37], v[36:37], v[28:29], -v[24:25]
	v_fma_f64 v[38:39], v[38:39], v[28:29], v[30:31]
	ds_load_b128 v[28:31], v107 offset:3168
	ds_load_b128 v[44:47], v107 offset:2112
	;; [unrolled: 1-line block ×4, first 2 shown]
	s_waitcnt vmcnt(0) lgkmcnt(3)
	v_mul_f64 v[24:25], v[30:31], v[34:35]
	v_mul_f64 v[34:35], v[28:29], v[34:35]
	s_delay_alu instid0(VALU_DEP_2) | instskip(SKIP_1) | instid1(VALU_DEP_1)
	v_fma_f64 v[28:29], v[28:29], v[32:33], -v[24:25]
	v_add_co_u32 v24, s0, 0x6000, v26
	v_add_co_ci_u32_e64 v25, s0, 0, v27, s0
	s_delay_alu instid0(VALU_DEP_4)
	v_fma_f64 v[30:31], v[30:31], v[32:33], v[34:35]
	s_clause 0x1
	global_load_b128 v[32:35], v[24:25], off offset:768
	global_load_b128 v[52:55], v[24:25], off offset:1824
	s_waitcnt vmcnt(1) lgkmcnt(1)
	v_mul_f64 v[60:61], v[50:51], v[34:35]
	v_mul_f64 v[34:35], v[48:49], v[34:35]
	s_delay_alu instid0(VALU_DEP_2) | instskip(NEXT) | instid1(VALU_DEP_2)
	v_fma_f64 v[48:49], v[48:49], v[32:33], -v[60:61]
	v_fma_f64 v[50:51], v[50:51], v[32:33], v[34:35]
	s_clause 0x1
	global_load_b128 v[32:35], v[24:25], off offset:3936
	global_load_b128 v[60:63], v[24:25], off offset:2880
	ds_load_b128 v[64:67], v107 offset:9504
	ds_load_b128 v[68:71], v107 offset:8448
	;; [unrolled: 1-line block ×6, first 2 shown]
	s_waitcnt vmcnt(1) lgkmcnt(5)
	v_mul_f64 v[24:25], v[66:67], v[34:35]
	v_mul_f64 v[34:35], v[64:65], v[34:35]
	s_delay_alu instid0(VALU_DEP_2) | instskip(SKIP_1) | instid1(VALU_DEP_1)
	v_fma_f64 v[64:65], v[64:65], v[32:33], -v[24:25]
	v_add_co_u32 v24, s0, 0x7000, v26
	v_add_co_ci_u32_e64 v25, s0, 0, v27, s0
	s_delay_alu instid0(VALU_DEP_4)
	v_fma_f64 v[66:67], v[66:67], v[32:33], v[34:35]
	s_clause 0x1
	global_load_b128 v[32:35], v[24:25], off offset:3008
	global_load_b128 v[76:79], v[24:25], off offset:4064
	s_waitcnt vmcnt(1) lgkmcnt(3)
	v_mul_f64 v[82:83], v[74:75], v[34:35]
	v_mul_f64 v[34:35], v[72:73], v[34:35]
	s_delay_alu instid0(VALU_DEP_2) | instskip(SKIP_1) | instid1(VALU_DEP_1)
	v_fma_f64 v[72:73], v[72:73], v[32:33], -v[82:83]
	v_add_co_u32 v82, s0, 0x8000, v26
	v_add_co_ci_u32_e64 v83, s0, 0, v27, s0
	s_delay_alu instid0(VALU_DEP_4)
	v_fma_f64 v[74:75], v[74:75], v[32:33], v[34:35]
	v_add_co_u32 v94, s0, 0x5000, v26
	s_clause 0x1
	global_load_b128 v[32:35], v[82:83], off offset:2080
	global_load_b128 v[101:104], v[82:83], off offset:1024
	v_add_co_ci_u32_e64 v95, s0, 0, v27, s0
	s_waitcnt vmcnt(1) lgkmcnt(1)
	v_mul_f64 v[88:89], v[99:100], v[34:35]
	v_mul_f64 v[34:35], v[97:98], v[34:35]
	s_delay_alu instid0(VALU_DEP_2) | instskip(NEXT) | instid1(VALU_DEP_2)
	v_fma_f64 v[97:98], v[97:98], v[32:33], -v[88:89]
	v_fma_f64 v[99:100], v[99:100], v[32:33], v[34:35]
	s_clause 0x1
	global_load_b128 v[32:35], v[80:81], off offset:1056
	global_load_b128 v[172:175], v[80:81], off offset:2112
	s_waitcnt vmcnt(1)
	v_mul_f64 v[80:81], v[42:43], v[34:35]
	v_mul_f64 v[34:35], v[40:41], v[34:35]
	s_delay_alu instid0(VALU_DEP_2) | instskip(NEXT) | instid1(VALU_DEP_2)
	v_fma_f64 v[40:41], v[40:41], v[32:33], -v[80:81]
	v_fma_f64 v[42:43], v[42:43], v[32:33], v[34:35]
	s_clause 0x1
	global_load_b128 v[32:35], v[82:83], off offset:3136
	global_load_b128 v[176:179], v[94:95], off offset:2752
	ds_load_b128 v[180:183], v107 offset:4224
	ds_load_b128 v[88:91], v107 offset:5280
	s_waitcnt vmcnt(0) lgkmcnt(1)
	v_mul_f64 v[80:81], v[182:183], v[178:179]
	v_mul_f64 v[82:83], v[180:181], v[178:179]
	s_delay_alu instid0(VALU_DEP_2) | instskip(NEXT) | instid1(VALU_DEP_2)
	v_fma_f64 v[178:179], v[180:181], v[176:177], -v[80:81]
	v_fma_f64 v[180:181], v[182:183], v[176:177], v[82:83]
	v_mul_f64 v[80:81], v[58:59], v[54:55]
	v_mul_f64 v[82:83], v[56:57], v[54:55]
	s_delay_alu instid0(VALU_DEP_2) | instskip(NEXT) | instid1(VALU_DEP_2)
	v_fma_f64 v[54:55], v[56:57], v[52:53], -v[80:81]
	v_fma_f64 v[56:57], v[58:59], v[52:53], v[82:83]
	s_clause 0x1
	global_load_b128 v[80:83], v[24:25], off offset:896
	global_load_b128 v[111:114], v[24:25], off offset:1952
	ds_load_b128 v[120:123], v107 offset:10560
	ds_load_b128 v[124:127], v107 offset:11616
	s_waitcnt vmcnt(1) lgkmcnt(1)
	v_mul_f64 v[24:25], v[122:123], v[82:83]
	v_mul_f64 v[52:53], v[120:121], v[82:83]
	s_delay_alu instid0(VALU_DEP_2) | instskip(SKIP_1) | instid1(VALU_DEP_3)
	v_fma_f64 v[120:121], v[120:121], v[80:81], -v[24:25]
	v_mul_f64 v[24:25], v[86:87], v[78:79]
	v_fma_f64 v[122:123], v[122:123], v[80:81], v[52:53]
	v_mul_f64 v[52:53], v[84:85], v[78:79]
	s_delay_alu instid0(VALU_DEP_3)
	v_fma_f64 v[78:79], v[84:85], v[76:77], -v[24:25]
	ds_load_b128 v[82:85], v107 offset:16896
	ds_load_b128 v[128:131], v107 offset:17952
	v_fma_f64 v[80:81], v[86:87], v[76:77], v[52:53]
	s_waitcnt lgkmcnt(1)
	v_mul_f64 v[24:25], v[84:85], v[34:35]
	v_mul_f64 v[34:35], v[82:83], v[34:35]
	s_delay_alu instid0(VALU_DEP_2) | instskip(SKIP_1) | instid1(VALU_DEP_3)
	v_fma_f64 v[82:83], v[82:83], v[32:33], -v[24:25]
	v_mul_f64 v[24:25], v[46:47], v[174:175]
	v_fma_f64 v[84:85], v[84:85], v[32:33], v[34:35]
	v_mul_f64 v[34:35], v[44:45], v[174:175]
	s_delay_alu instid0(VALU_DEP_3) | instskip(SKIP_1) | instid1(VALU_DEP_1)
	v_fma_f64 v[32:33], v[44:45], v[172:173], -v[24:25]
	v_add_co_u32 v44, s0, 0x9000, v26
	v_add_co_ci_u32_e64 v45, s0, 0, v27, s0
	s_delay_alu instid0(VALU_DEP_4)
	v_fma_f64 v[34:35], v[46:47], v[172:173], v[34:35]
	s_clause 0x1
	global_load_b128 v[24:27], v[94:95], off offset:3808
	global_load_b128 v[44:47], v[44:45], off offset:96
	s_waitcnt vmcnt(1)
	v_mul_f64 v[52:53], v[90:91], v[26:27]
	v_mul_f64 v[26:27], v[88:89], v[26:27]
	s_delay_alu instid0(VALU_DEP_2) | instskip(SKIP_1) | instid1(VALU_DEP_3)
	v_fma_f64 v[86:87], v[88:89], v[24:25], -v[52:53]
	v_mul_f64 v[52:53], v[126:127], v[113:114]
	v_fma_f64 v[88:89], v[90:91], v[24:25], v[26:27]
	v_mul_f64 v[24:25], v[70:71], v[62:63]
	v_mul_f64 v[26:27], v[68:69], v[62:63]
	;; [unrolled: 1-line block ×3, first 2 shown]
	v_fma_f64 v[58:59], v[124:125], v[111:112], -v[52:53]
	v_mul_f64 v[52:53], v[118:119], v[103:104]
	v_fma_f64 v[24:25], v[68:69], v[60:61], -v[24:25]
	v_fma_f64 v[26:27], v[70:71], v[60:61], v[26:27]
	v_mul_f64 v[60:61], v[124:125], v[113:114]
	v_fma_f64 v[70:71], v[118:119], v[101:102], v[62:63]
	v_fma_f64 v[68:69], v[116:117], v[101:102], -v[52:53]
	s_waitcnt vmcnt(0) lgkmcnt(0)
	v_mul_f64 v[52:53], v[130:131], v[46:47]
	v_mul_f64 v[46:47], v[128:129], v[46:47]
	v_fma_f64 v[60:61], v[126:127], v[111:112], v[60:61]
	s_delay_alu instid0(VALU_DEP_3) | instskip(NEXT) | instid1(VALU_DEP_3)
	v_fma_f64 v[101:102], v[128:129], v[44:45], -v[52:53]
	v_fma_f64 v[103:104], v[130:131], v[44:45], v[46:47]
	ds_store_b128 v107, v[36:39]
	ds_store_b128 v107, v[40:43] offset:1056
	ds_store_b128 v107, v[48:51] offset:6336
	;; [unrolled: 1-line block ×17, first 2 shown]
	s_waitcnt lgkmcnt(0)
	s_barrier
	buffer_gl0_inv
	ds_load_b128 v[24:27], v107
	ds_load_b128 v[28:31], v107 offset:6336
	ds_load_b128 v[32:35], v107 offset:7392
	;; [unrolled: 1-line block ×5, first 2 shown]
	s_waitcnt lgkmcnt(4)
	v_add_f64 v[48:49], v[24:25], v[28:29]
	v_add_f64 v[50:51], v[26:27], v[30:31]
	s_waitcnt lgkmcnt(1)
	v_add_f64 v[64:65], v[28:29], v[40:41]
	v_add_f64 v[66:67], v[30:31], v[42:43]
	v_add_f64 v[68:69], v[30:31], -v[42:43]
	v_add_f64 v[70:71], v[28:29], -v[40:41]
	v_add_f64 v[72:73], v[48:49], v[40:41]
	v_add_f64 v[74:75], v[50:51], v[42:43]
	ds_load_b128 v[28:31], v107 offset:3168
	ds_load_b128 v[40:43], v107 offset:9504
	;; [unrolled: 1-line block ×6, first 2 shown]
	v_fma_f64 v[64:65], v[64:65], -0.5, v[24:25]
	v_fma_f64 v[66:67], v[66:67], -0.5, v[26:27]
	s_waitcnt lgkmcnt(4)
	v_add_f64 v[76:77], v[28:29], v[40:41]
	v_add_f64 v[78:79], v[30:31], v[42:43]
	s_waitcnt lgkmcnt(1)
	v_add_f64 v[80:81], v[42:43], v[58:59]
	v_add_f64 v[82:83], v[40:41], v[56:57]
	v_add_f64 v[84:85], v[40:41], -v[56:57]
	v_add_f64 v[86:87], v[42:43], -v[58:59]
	v_add_f64 v[40:41], v[76:77], v[56:57]
	v_add_f64 v[42:43], v[78:79], v[58:59]
	v_fma_f64 v[76:77], v[80:81], -0.5, v[30:31]
	v_fma_f64 v[78:79], v[82:83], -0.5, v[28:29]
	s_delay_alu instid0(VALU_DEP_4) | instskip(SKIP_1) | instid1(VALU_DEP_4)
	v_add_f64 v[24:25], v[72:73], v[40:41]
	v_add_f64 v[28:29], v[72:73], -v[40:41]
	v_fma_f64 v[40:41], v[84:85], s[12:13], v[76:77]
	v_add_f64 v[26:27], v[74:75], v[42:43]
	v_add_f64 v[30:31], v[74:75], -v[42:43]
	v_fma_f64 v[56:57], v[86:87], s[14:15], v[78:79]
	v_fma_f64 v[74:75], v[70:71], s[12:13], v[66:67]
	;; [unrolled: 1-line block ×3, first 2 shown]
	v_mul_f64 v[42:43], v[40:41], s[14:15]
	v_mul_f64 v[40:41], v[40:41], 0.5
	s_delay_alu instid0(VALU_DEP_2) | instskip(NEXT) | instid1(VALU_DEP_2)
	v_fma_f64 v[58:59], v[56:57], 0.5, v[42:43]
	v_fma_f64 v[72:73], v[56:57], s[12:13], v[40:41]
	v_fma_f64 v[56:57], v[68:69], s[14:15], v[64:65]
	;; [unrolled: 1-line block ×3, first 2 shown]
	s_delay_alu instid0(VALU_DEP_3) | instskip(NEXT) | instid1(VALU_DEP_3)
	v_add_f64 v[42:43], v[74:75], v[72:73]
	v_add_f64 v[40:41], v[56:57], v[58:59]
	v_add_f64 v[56:57], v[56:57], -v[58:59]
	v_add_f64 v[58:59], v[74:75], -v[72:73]
	v_fma_f64 v[72:73], v[84:85], s[14:15], v[76:77]
	v_fma_f64 v[74:75], v[86:87], s[12:13], v[78:79]
	s_delay_alu instid0(VALU_DEP_2) | instskip(SKIP_1) | instid1(VALU_DEP_2)
	v_mul_f64 v[64:65], v[72:73], s[14:15]
	v_mul_f64 v[66:67], v[72:73], -0.5
	v_fma_f64 v[72:73], v[74:75], -0.5, v[64:65]
	s_delay_alu instid0(VALU_DEP_2) | instskip(NEXT) | instid1(VALU_DEP_2)
	v_fma_f64 v[74:75], v[74:75], s[12:13], v[66:67]
	v_add_f64 v[64:65], v[68:69], v[72:73]
	s_delay_alu instid0(VALU_DEP_2)
	v_add_f64 v[66:67], v[70:71], v[74:75]
	v_add_f64 v[68:69], v[68:69], -v[72:73]
	v_add_f64 v[70:71], v[70:71], -v[74:75]
	ds_load_b128 v[72:75], v107 offset:10560
	ds_load_b128 v[76:79], v107 offset:11616
	;; [unrolled: 1-line block ×6, first 2 shown]
	s_waitcnt lgkmcnt(0)
	s_barrier
	buffer_gl0_inv
	scratch_load_b32 v94, off, off offset:420 ; 4-byte Folded Reload
	s_waitcnt vmcnt(0)
	ds_store_b128 v94, v[24:27]
	ds_store_b128 v94, v[40:43] offset:16
	ds_store_b128 v94, v[28:31] offset:48
	;; [unrolled: 1-line block ×5, first 2 shown]
	v_add_f64 v[24:25], v[36:37], v[32:33]
	v_add_f64 v[26:27], v[38:39], v[34:35]
	;; [unrolled: 1-line block ×3, first 2 shown]
	v_add_f64 v[42:43], v[32:33], -v[44:45]
	v_add_f64 v[32:33], v[88:89], v[72:73]
	v_add_f64 v[56:57], v[52:53], v[48:49]
	;; [unrolled: 1-line block ×3, first 2 shown]
	v_add_f64 v[40:41], v[34:35], -v[46:47]
	v_add_f64 v[34:35], v[90:91], v[74:75]
	v_add_f64 v[68:69], v[72:73], -v[80:81]
	v_add_f64 v[58:59], v[54:55], v[50:51]
	v_add_f64 v[64:65], v[48:49], v[60:61]
	v_add_f64 v[48:49], v[48:49], -v[60:61]
	v_add_f64 v[70:71], v[74:75], -v[82:83]
	v_add_f64 v[66:67], v[50:51], v[62:63]
	v_add_f64 v[50:51], v[50:51], -v[62:63]
	v_add_f64 v[24:25], v[24:25], v[44:45]
	v_add_f64 v[44:45], v[74:75], v[82:83]
	;; [unrolled: 1-line block ×9, first 2 shown]
	v_add_f64 v[76:77], v[76:77], -v[84:85]
	v_add_f64 v[62:63], v[58:59], v[62:63]
	v_add_f64 v[58:59], v[99:100], v[78:79]
	;; [unrolled: 1-line block ×3, first 2 shown]
	v_add_f64 v[78:79], v[78:79], -v[86:87]
	v_fma_f64 v[28:29], v[28:29], -0.5, v[36:37]
	v_fma_f64 v[30:31], v[30:31], -0.5, v[38:39]
	;; [unrolled: 1-line block ×4, first 2 shown]
	v_add_f64 v[80:81], v[56:57], v[84:85]
	v_fma_f64 v[84:85], v[64:65], -0.5, v[52:53]
	v_add_f64 v[52:53], v[24:25], v[32:33]
	v_add_f64 v[56:57], v[24:25], -v[32:33]
	v_fma_f64 v[74:75], v[74:75], -0.5, v[97:98]
	v_add_f64 v[82:83], v[58:59], v[86:87]
	v_fma_f64 v[86:87], v[66:67], -0.5, v[54:55]
	v_add_f64 v[54:55], v[26:27], v[34:35]
	v_add_f64 v[58:59], v[26:27], -v[34:35]
	v_fma_f64 v[66:67], v[42:43], s[12:13], v[30:31]
	v_fma_f64 v[64:65], v[40:41], s[14:15], v[28:29]
	;; [unrolled: 1-line block ×3, first 2 shown]
	v_fma_f64 v[72:73], v[72:73], -0.5, v[99:100]
	v_fma_f64 v[30:31], v[42:43], s[14:15], v[30:31]
	v_fma_f64 v[24:25], v[68:69], s[12:13], v[44:45]
	v_add_f64 v[32:33], v[60:61], v[80:81]
	v_add_f64 v[36:37], v[60:61], -v[80:81]
	v_fma_f64 v[60:61], v[70:71], s[14:15], v[46:47]
	v_add_f64 v[34:35], v[62:63], v[82:83]
	v_add_f64 v[38:39], v[62:63], -v[82:83]
	v_mul_f64 v[26:27], v[24:25], s[14:15]
	v_mul_f64 v[24:25], v[24:25], 0.5
	s_delay_alu instid0(VALU_DEP_2) | instskip(NEXT) | instid1(VALU_DEP_2)
	v_fma_f64 v[26:27], v[60:61], 0.5, v[26:27]
	v_fma_f64 v[24:25], v[60:61], s[12:13], v[24:25]
	s_delay_alu instid0(VALU_DEP_2) | instskip(NEXT) | instid1(VALU_DEP_2)
	v_add_f64 v[60:61], v[64:65], v[26:27]
	v_add_f64 v[62:63], v[66:67], v[24:25]
	v_add_f64 v[66:67], v[66:67], -v[24:25]
	v_fma_f64 v[24:25], v[68:69], s[14:15], v[44:45]
	v_add_f64 v[64:65], v[64:65], -v[26:27]
	v_fma_f64 v[26:27], v[70:71], s[12:13], v[46:47]
	v_fma_f64 v[46:47], v[48:49], s[12:13], v[86:87]
	;; [unrolled: 1-line block ×4, first 2 shown]
	v_mul_f64 v[40:41], v[24:25], s[14:15]
	v_mul_f64 v[24:25], v[24:25], -0.5
	s_delay_alu instid0(VALU_DEP_2) | instskip(NEXT) | instid1(VALU_DEP_2)
	v_fma_f64 v[40:41], v[26:27], -0.5, v[40:41]
	v_fma_f64 v[26:27], v[26:27], s[12:13], v[24:25]
	s_delay_alu instid0(VALU_DEP_2) | instskip(SKIP_2) | instid1(VALU_DEP_4)
	v_add_f64 v[68:69], v[28:29], v[40:41]
	v_add_f64 v[24:25], v[28:29], -v[40:41]
	v_fma_f64 v[28:29], v[76:77], s[12:13], v[72:73]
	v_add_f64 v[70:71], v[30:31], v[26:27]
	v_add_f64 v[26:27], v[30:31], -v[26:27]
	v_fma_f64 v[40:41], v[78:79], s[14:15], v[74:75]
	s_delay_alu instid0(VALU_DEP_4) | instskip(SKIP_1) | instid1(VALU_DEP_2)
	v_mul_f64 v[30:31], v[28:29], s[14:15]
	v_mul_f64 v[28:29], v[28:29], 0.5
	v_fma_f64 v[42:43], v[40:41], 0.5, v[30:31]
	s_delay_alu instid0(VALU_DEP_2) | instskip(NEXT) | instid1(VALU_DEP_2)
	v_fma_f64 v[40:41], v[40:41], s[12:13], v[28:29]
	v_add_f64 v[28:29], v[44:45], v[42:43]
	s_delay_alu instid0(VALU_DEP_2)
	v_add_f64 v[30:31], v[46:47], v[40:41]
	v_add_f64 v[46:47], v[46:47], -v[40:41]
	v_fma_f64 v[40:41], v[76:77], s[14:15], v[72:73]
	v_add_f64 v[44:45], v[44:45], -v[42:43]
	v_fma_f64 v[42:43], v[78:79], s[12:13], v[74:75]
	v_fma_f64 v[72:73], v[48:49], s[14:15], v[86:87]
	s_delay_alu instid0(VALU_DEP_4) | instskip(SKIP_1) | instid1(VALU_DEP_2)
	v_mul_f64 v[48:49], v[40:41], s[14:15]
	v_mul_f64 v[40:41], v[40:41], -0.5
	v_fma_f64 v[48:49], v[42:43], -0.5, v[48:49]
	s_delay_alu instid0(VALU_DEP_2) | instskip(NEXT) | instid1(VALU_DEP_2)
	v_fma_f64 v[74:75], v[42:43], s[12:13], v[40:41]
	v_add_f64 v[40:41], v[50:51], v[48:49]
	s_delay_alu instid0(VALU_DEP_2)
	v_add_f64 v[42:43], v[72:73], v[74:75]
	v_add_f64 v[48:49], v[50:51], -v[48:49]
	v_add_f64 v[50:51], v[72:73], -v[74:75]
	scratch_load_b32 v72, off, off offset:384 ; 4-byte Folded Reload
	s_waitcnt vmcnt(0)
	ds_store_b128 v72, v[52:55]
	ds_store_b128 v72, v[60:63] offset:16
	ds_store_b128 v72, v[68:71] offset:32
	;; [unrolled: 1-line block ×5, first 2 shown]
	scratch_load_b32 v52, off, off offset:364 ; 4-byte Folded Reload
	s_waitcnt vmcnt(0)
	ds_store_b128 v52, v[32:35]
	ds_store_b128 v52, v[28:31] offset:16
	ds_store_b128 v52, v[40:43] offset:32
	;; [unrolled: 1-line block ×5, first 2 shown]
	s_waitcnt lgkmcnt(0)
	s_barrier
	buffer_gl0_inv
	ds_load_b128 v[52:55], v107
	ds_load_b128 v[180:183], v107 offset:1728
	ds_load_b128 v[176:179], v107 offset:3456
	;; [unrolled: 1-line block ×10, first 2 shown]
	s_and_saveexec_b32 s0, vcc_lo
	s_cbranch_execz .LBB0_7
; %bb.6:
	ds_load_b128 v[24:27], v107 offset:1056
	ds_load_b128 v[32:35], v107 offset:2784
	;; [unrolled: 1-line block ×8, first 2 shown]
	s_waitcnt lgkmcnt(0)
	scratch_store_b128 off, v[80:83], off offset:48 ; 16-byte Folded Spill
	ds_load_b128 v[80:83], v107 offset:14880
	s_waitcnt lgkmcnt(0)
	scratch_store_b128 off, v[80:83], off offset:32 ; 16-byte Folded Spill
	ds_load_b128 v[80:83], v107 offset:16608
	s_waitcnt lgkmcnt(0)
	scratch_store_b128 off, v[80:83], off   ; 16-byte Folded Spill
	ds_load_b128 v[80:83], v107 offset:18336
	s_waitcnt lgkmcnt(0)
	scratch_store_b128 off, v[80:83], off offset:16 ; 16-byte Folded Spill
.LBB0_7:
	s_or_b32 exec_lo, exec_lo, s0
	s_clause 0x1
	scratch_load_b128 v[86:89], off, off offset:368
	scratch_load_b128 v[101:104], off, off offset:404
	s_waitcnt lgkmcnt(6)
	v_mul_f64 v[82:83], v[150:151], v[68:69]
	s_mov_b32 s12, 0xf8bb580b
	s_mov_b32 s10, 0x8eee2c13
	;; [unrolled: 1-line block ×29, first 2 shown]
	s_waitcnt vmcnt(1)
	v_mul_f64 v[80:81], v[88:89], v[182:183]
	s_waitcnt vmcnt(0) lgkmcnt(5)
	v_mul_f64 v[94:95], v[103:104], v[60:61]
	s_delay_alu instid0(VALU_DEP_2) | instskip(SKIP_4) | instid1(VALU_DEP_1)
	v_fma_f64 v[84:85], v[86:87], v[180:181], v[80:81]
	v_mul_f64 v[80:81], v[88:89], v[180:181]
	scratch_load_b128 v[88:91], off, off offset:424 ; 16-byte Folded Reload
	v_fma_f64 v[86:87], v[86:87], v[182:183], -v[80:81]
	v_mul_f64 v[80:81], v[134:135], v[176:177]
	v_fma_f64 v[114:115], v[132:133], v[178:179], -v[80:81]
	v_mul_f64 v[80:81], v[134:135], v[178:179]
	s_delay_alu instid0(VALU_DEP_1) | instskip(SKIP_2) | instid1(VALU_DEP_1)
	v_fma_f64 v[132:133], v[132:133], v[176:177], v[80:81]
	s_waitcnt vmcnt(0) lgkmcnt(0)
	v_mul_f64 v[80:81], v[90:91], v[172:173]
	v_fma_f64 v[97:98], v[88:89], v[174:175], -v[80:81]
	v_mul_f64 v[80:81], v[90:91], v[174:175]
	s_delay_alu instid0(VALU_DEP_2) | instskip(NEXT) | instid1(VALU_DEP_2)
	v_add_f64 v[90:91], v[86:87], -v[97:98]
	v_fma_f64 v[112:113], v[88:89], v[172:173], v[80:81]
	v_mul_f64 v[80:81], v[142:143], v[72:73]
	v_mul_f64 v[88:89], v[158:159], v[66:67]
	s_delay_alu instid0(VALU_DEP_4) | instskip(NEXT) | instid1(VALU_DEP_3)
	v_mul_f64 v[99:100], v[90:91], s[12:13]
	v_fma_f64 v[128:129], v[140:141], v[74:75], -v[80:81]
	v_mul_f64 v[74:75], v[142:143], v[74:75]
	v_mul_f64 v[80:81], v[150:151], v[70:71]
	v_fma_f64 v[70:71], v[148:149], v[70:71], -v[82:83]
	v_mul_f64 v[82:83], v[103:104], v[62:63]
	v_fma_f64 v[62:63], v[101:102], v[62:63], -v[94:95]
	v_mul_f64 v[94:95], v[90:91], s[10:11]
	v_mul_f64 v[103:104], v[90:91], s[8:9]
	v_fma_f64 v[130:131], v[140:141], v[72:73], v[74:75]
	v_mul_f64 v[72:73], v[138:139], v[76:77]
	v_mul_f64 v[74:75], v[138:139], v[78:79]
	v_fma_f64 v[68:69], v[148:149], v[68:69], v[80:81]
	v_mul_f64 v[80:81], v[158:159], v[64:65]
	v_fma_f64 v[64:65], v[156:157], v[64:65], v[88:89]
	v_fma_f64 v[60:61], v[101:102], v[60:61], v[82:83]
	v_add_f64 v[82:83], v[84:85], v[112:113]
	v_mul_f64 v[101:102], v[90:91], s[0:1]
	v_mul_f64 v[90:91], v[90:91], s[14:15]
	v_fma_f64 v[72:73], v[136:137], v[78:79], -v[72:73]
	v_fma_f64 v[74:75], v[136:137], v[76:77], v[74:75]
	v_mul_f64 v[76:77], v[162:163], v[116:117]
	v_mul_f64 v[78:79], v[162:163], v[118:119]
	v_fma_f64 v[66:67], v[156:157], v[66:67], -v[80:81]
	v_add_f64 v[136:137], v[84:85], -v[112:113]
	v_add_f64 v[156:157], v[54:55], v[86:87]
	v_add_f64 v[166:167], v[68:69], v[64:65]
	v_fma_f64 v[120:121], v[82:83], s[18:19], v[90:91]
	v_add_f64 v[188:189], v[68:69], -v[64:65]
	v_add_f64 v[174:175], v[114:115], v[72:73]
	v_add_f64 v[162:163], v[132:133], v[74:75]
	v_fma_f64 v[76:77], v[160:161], v[118:119], -v[76:77]
	v_fma_f64 v[78:79], v[160:161], v[116:117], v[78:79]
	scratch_load_b128 v[116:119], off, off offset:388 ; 16-byte Folded Reload
	v_add_f64 v[160:161], v[114:115], -v[72:73]
	v_add_f64 v[176:177], v[132:133], -v[74:75]
	;; [unrolled: 1-line block ×3, first 2 shown]
	v_add_f64 v[120:121], v[52:53], v[120:121]
	v_add_f64 v[170:171], v[70:71], v[66:67]
	;; [unrolled: 1-line block ×3, first 2 shown]
	s_waitcnt vmcnt(0)
	s_waitcnt_vscnt null, 0x0
	s_barrier
	buffer_gl0_inv
	v_mul_f64 v[178:179], v[174:175], s[24:25]
	v_mul_f64 v[216:217], v[174:175], s[22:23]
	v_add_f64 v[180:181], v[128:129], -v[76:77]
	v_add_f64 v[182:183], v[130:131], v[78:79]
	v_add_f64 v[108:109], v[128:129], v[76:77]
	v_mul_f64 v[172:173], v[160:161], s[10:11]
	v_add_f64 v[152:153], v[130:131], -v[78:79]
	v_mul_f64 v[168:169], v[164:165], s[8:9]
	v_mul_f64 v[214:215], v[160:161], s[34:35]
	;; [unrolled: 1-line block ×5, first 2 shown]
	v_add_f64 v[114:115], v[114:115], v[128:129]
	v_mul_f64 v[105:106], v[180:181], s[0:1]
	v_mul_f64 v[218:219], v[180:181], s[12:13]
	;; [unrolled: 1-line block ×4, first 2 shown]
	v_add_f64 v[70:71], v[114:115], v[70:71]
	v_fma_f64 v[114:115], v[162:163], s[24:25], -v[172:173]
	v_mul_f64 v[80:81], v[118:119], v[58:59]
	v_mul_f64 v[88:89], v[118:119], v[56:57]
	v_fma_f64 v[118:119], v[82:83], s[20:21], v[103:104]
	v_fma_f64 v[103:104], v[82:83], s[20:21], -v[103:104]
	s_delay_alu instid0(VALU_DEP_4) | instskip(NEXT) | instid1(VALU_DEP_4)
	v_fma_f64 v[56:57], v[116:117], v[56:57], v[80:81]
	v_fma_f64 v[58:59], v[116:117], v[58:59], -v[88:89]
	v_fma_f64 v[80:81], v[82:83], s[16:17], v[99:100]
	v_fma_f64 v[88:89], v[82:83], s[16:17], -v[99:100]
	;; [unrolled: 2-line block ×4, first 2 shown]
	v_fma_f64 v[82:83], v[82:83], s[18:19], -v[90:91]
	v_add_f64 v[90:91], v[86:87], v[97:98]
	v_add_f64 v[103:104], v[52:53], v[103:104]
	;; [unrolled: 1-line block ×3, first 2 shown]
	v_add_f64 v[192:193], v[62:63], -v[58:59]
	v_add_f64 v[80:81], v[52:53], v[80:81]
	v_add_f64 v[158:159], v[52:53], v[88:89]
	;; [unrolled: 1-line block ×6, first 2 shown]
	v_add_f64 v[200:201], v[60:61], -v[56:57]
	v_mul_f64 v[122:123], v[90:91], s[16:17]
	v_mul_f64 v[124:125], v[90:91], s[24:25]
	;; [unrolled: 1-line block ×6, first 2 shown]
	v_add_f64 v[62:63], v[70:71], v[62:63]
	v_fma_f64 v[70:71], v[162:163], s[22:23], -v[214:215]
	v_mul_f64 v[196:197], v[192:193], s[14:15]
	v_mul_f64 v[226:227], v[192:193], s[26:27]
	v_add_f64 v[114:115], v[114:115], v[158:159]
	v_mul_f64 v[202:203], v[198:199], s[18:19]
	v_mul_f64 v[212:213], v[198:199], s[20:21]
	v_fma_f64 v[150:151], v[136:137], s[30:31], v[122:123]
	v_fma_f64 v[138:139], v[136:137], s[26:27], v[124:125]
	v_fma_f64 v[140:141], v[136:137], s[34:35], v[126:127]
	v_fma_f64 v[142:143], v[136:137], s[36:37], v[134:135]
	v_fma_f64 v[148:149], v[136:137], s[28:29], v[90:91]
	v_fma_f64 v[124:125], v[136:137], s[10:11], v[124:125]
	v_fma_f64 v[126:127], v[136:137], s[0:1], v[126:127]
	v_fma_f64 v[134:135], v[136:137], s[8:9], v[134:135]
	v_fma_f64 v[90:91], v[136:137], s[14:15], v[90:91]
	v_fma_f64 v[122:123], v[136:137], s[12:13], v[122:123]
	v_add_f64 v[136:137], v[52:53], v[84:85]
	v_mul_f64 v[228:229], v[198:199], s[24:25]
	v_add_f64 v[58:59], v[62:63], v[58:59]
	v_fma_f64 v[62:63], v[176:177], s[34:35], v[216:217]
	v_add_f64 v[70:71], v[70:71], v[103:104]
	v_add_f64 v[84:85], v[54:55], v[150:151]
	;; [unrolled: 1-line block ×9, first 2 shown]
	v_fma_f64 v[52:53], v[162:163], s[24:25], v[172:173]
	v_add_f64 v[124:125], v[54:55], v[124:125]
	v_add_f64 v[150:151], v[54:55], v[90:91]
	;; [unrolled: 1-line block ×5, first 2 shown]
	v_fma_f64 v[54:55], v[176:177], s[26:27], v[178:179]
	v_fma_f64 v[90:91], v[182:183], s[18:19], v[88:89]
	v_fma_f64 v[88:89], v[182:183], s[18:19], -v[88:89]
	v_add_f64 v[132:133], v[136:137], v[132:133]
	v_fma_f64 v[136:137], v[152:153], s[12:13], v[220:221]
	v_add_f64 v[58:59], v[58:59], v[66:67]
	v_add_f64 v[52:53], v[52:53], v[80:81]
	v_fma_f64 v[80:81], v[182:183], s[22:23], v[105:106]
	v_fma_f64 v[105:106], v[182:183], s[22:23], -v[105:106]
	v_add_f64 v[62:63], v[62:63], v[134:135]
	v_fma_f64 v[134:135], v[188:189], s[14:15], v[224:225]
	v_add_f64 v[54:55], v[54:55], v[84:85]
	v_mul_f64 v[84:85], v[160:161], s[8:9]
	v_add_f64 v[130:131], v[132:133], v[130:131]
	v_add_f64 v[58:59], v[58:59], v[76:77]
	;; [unrolled: 1-line block ×3, first 2 shown]
	v_fma_f64 v[80:81], v[152:153], s[34:35], v[154:155]
	v_add_f64 v[62:63], v[136:137], v[62:63]
	v_add_f64 v[105:106], v[105:106], v[114:115]
	v_fma_f64 v[136:137], v[200:201], s[8:9], v[212:213]
	v_add_f64 v[68:69], v[130:131], v[68:69]
	v_fma_f64 v[130:131], v[182:183], s[16:17], -v[218:219]
	v_add_f64 v[54:55], v[80:81], v[54:55]
	v_fma_f64 v[80:81], v[166:167], s[20:21], v[168:169]
	v_add_f64 v[62:63], v[134:135], v[62:63]
	v_add_f64 v[60:61], v[68:69], v[60:61]
	;; [unrolled: 1-line block ×3, first 2 shown]
	v_fma_f64 v[130:131], v[200:201], s[26:27], v[228:229]
	v_add_f64 v[52:53], v[80:81], v[52:53]
	v_fma_f64 v[80:81], v[188:189], s[36:37], v[190:191]
	v_add_f64 v[56:57], v[60:61], v[56:57]
	s_delay_alu instid0(VALU_DEP_4) | instskip(NEXT) | instid1(VALU_DEP_3)
	v_add_f64 v[62:63], v[130:131], v[62:63]
	v_add_f64 v[54:55], v[80:81], v[54:55]
	v_fma_f64 v[80:81], v[194:195], s[18:19], v[196:197]
	s_delay_alu instid0(VALU_DEP_4) | instskip(NEXT) | instid1(VALU_DEP_2)
	v_add_f64 v[56:57], v[56:57], v[64:65]
	v_add_f64 v[52:53], v[80:81], v[52:53]
	v_fma_f64 v[80:81], v[200:201], s[28:29], v[202:203]
	s_delay_alu instid0(VALU_DEP_3) | instskip(SKIP_1) | instid1(VALU_DEP_3)
	v_add_f64 v[56:57], v[56:57], v[78:79]
	v_fma_f64 v[78:79], v[194:195], s[24:25], -v[226:227]
	v_add_f64 v[54:55], v[80:81], v[54:55]
	v_fma_f64 v[80:81], v[162:163], s[20:21], v[84:85]
	v_fma_f64 v[84:85], v[162:163], s[20:21], -v[84:85]
	s_delay_alu instid0(VALU_DEP_2) | instskip(SKIP_1) | instid1(VALU_DEP_3)
	v_add_f64 v[80:81], v[80:81], v[86:87]
	v_mul_f64 v[86:87], v[174:175], s[20:21]
	v_add_f64 v[84:85], v[84:85], v[94:95]
	v_mul_f64 v[94:95], v[160:161], s[28:29]
	v_mul_f64 v[160:161], v[160:161], s[30:31]
	v_add_f64 v[80:81], v[90:91], v[80:81]
	v_fma_f64 v[82:83], v[176:177], s[36:37], v[86:87]
	v_mul_f64 v[90:91], v[108:109], s[18:19]
	v_fma_f64 v[86:87], v[176:177], s[8:9], v[86:87]
	v_add_f64 v[84:85], v[88:89], v[84:85]
	v_fma_f64 v[68:69], v[162:163], s[16:17], -v[160:161]
	v_add_f64 v[82:83], v[82:83], v[99:100]
	v_fma_f64 v[99:100], v[152:153], s[14:15], v[90:91]
	v_add_f64 v[86:87], v[86:87], v[124:125]
	v_fma_f64 v[88:89], v[152:153], s[28:29], v[90:91]
	v_mul_f64 v[124:125], v[174:175], s[18:19]
	v_add_f64 v[68:69], v[68:69], v[148:149]
	v_add_f64 v[82:83], v[99:100], v[82:83]
	v_mul_f64 v[99:100], v[164:165], s[34:35]
	v_add_f64 v[86:87], v[88:89], v[86:87]
	s_delay_alu instid0(VALU_DEP_2) | instskip(SKIP_1) | instid1(VALU_DEP_2)
	v_fma_f64 v[204:205], v[166:167], s[22:23], v[99:100]
	v_fma_f64 v[88:89], v[166:167], s[22:23], -v[99:100]
	v_add_f64 v[80:81], v[204:205], v[80:81]
	v_mul_f64 v[204:205], v[170:171], s[22:23]
	s_delay_alu instid0(VALU_DEP_3) | instskip(NEXT) | instid1(VALU_DEP_2)
	v_add_f64 v[84:85], v[88:89], v[84:85]
	v_fma_f64 v[206:207], v[188:189], s[0:1], v[204:205]
	v_fma_f64 v[88:89], v[188:189], s[34:35], v[204:205]
	v_mul_f64 v[204:205], v[108:109], s[24:25]
	v_mul_f64 v[108:109], v[108:109], s[20:21]
	s_delay_alu instid0(VALU_DEP_4) | instskip(SKIP_2) | instid1(VALU_DEP_2)
	v_add_f64 v[82:83], v[206:207], v[82:83]
	v_mul_f64 v[206:207], v[192:193], s[30:31]
	v_add_f64 v[86:87], v[88:89], v[86:87]
	v_fma_f64 v[208:209], v[194:195], s[16:17], v[206:207]
	v_fma_f64 v[88:89], v[194:195], s[16:17], -v[206:207]
	v_mul_f64 v[206:207], v[164:165], s[12:13]
	v_mul_f64 v[164:165], v[164:165], s[26:27]
	s_delay_alu instid0(VALU_DEP_4)
	v_add_f64 v[80:81], v[208:209], v[80:81]
	v_mul_f64 v[208:209], v[198:199], s[16:17]
	v_add_f64 v[84:85], v[88:89], v[84:85]
	v_fma_f64 v[88:89], v[162:163], s[18:19], v[94:95]
	v_fma_f64 v[94:95], v[162:163], s[18:19], -v[94:95]
	v_fma_f64 v[66:67], v[166:167], s[24:25], -v[164:165]
	v_fma_f64 v[90:91], v[200:201], s[30:31], v[208:209]
	v_fma_f64 v[210:211], v[200:201], s[12:13], v[208:209]
	v_add_f64 v[88:89], v[88:89], v[116:117]
	v_mul_f64 v[208:209], v[170:171], s[16:17]
	v_fma_f64 v[116:117], v[182:183], s[16:17], v[218:219]
	v_mul_f64 v[170:171], v[170:171], s[24:25]
	v_add_f64 v[94:95], v[94:95], v[140:141]
	v_fma_f64 v[140:141], v[188:189], s[8:9], v[190:191]
	v_add_f64 v[86:87], v[90:91], v[86:87]
	v_fma_f64 v[90:91], v[176:177], s[14:15], v[124:125]
	v_add_f64 v[82:83], v[210:211], v[82:83]
	v_mul_f64 v[210:211], v[192:193], s[8:9]
	v_fma_f64 v[148:149], v[188:189], s[12:13], v[208:209]
	s_delay_alu instid0(VALU_DEP_4) | instskip(SKIP_1) | instid1(VALU_DEP_4)
	v_add_f64 v[90:91], v[90:91], v[138:139]
	v_mul_f64 v[138:139], v[180:181], s[26:27]
	v_fma_f64 v[114:115], v[194:195], s[20:21], -v[210:211]
	s_delay_alu instid0(VALU_DEP_2) | instskip(SKIP_2) | instid1(VALU_DEP_3)
	v_fma_f64 v[99:100], v[182:183], s[24:25], v[138:139]
	v_fma_f64 v[132:133], v[182:183], s[24:25], -v[138:139]
	v_fma_f64 v[138:139], v[152:153], s[0:1], v[154:155]
	v_add_f64 v[88:89], v[99:100], v[88:89]
	v_fma_f64 v[99:100], v[152:153], s[10:11], v[204:205]
	s_delay_alu instid0(VALU_DEP_4) | instskip(SKIP_1) | instid1(VALU_DEP_3)
	v_add_f64 v[94:95], v[132:133], v[94:95]
	v_fma_f64 v[132:133], v[200:201], s[14:15], v[202:203]
	v_add_f64 v[90:91], v[99:100], v[90:91]
	v_fma_f64 v[99:100], v[166:167], s[16:17], v[206:207]
	s_delay_alu instid0(VALU_DEP_1) | instskip(SKIP_1) | instid1(VALU_DEP_1)
	v_add_f64 v[88:89], v[99:100], v[88:89]
	v_fma_f64 v[99:100], v[188:189], s[30:31], v[208:209]
	v_add_f64 v[90:91], v[99:100], v[90:91]
	v_fma_f64 v[99:100], v[194:195], s[20:21], v[210:211]
	s_delay_alu instid0(VALU_DEP_1) | instskip(SKIP_1) | instid1(VALU_DEP_1)
	v_add_f64 v[88:89], v[99:100], v[88:89]
	v_fma_f64 v[99:100], v[200:201], s[36:37], v[212:213]
	v_add_f64 v[90:91], v[99:100], v[90:91]
	v_fma_f64 v[99:100], v[162:163], s[22:23], v[214:215]
	s_delay_alu instid0(VALU_DEP_1) | instskip(SKIP_1) | instid1(VALU_DEP_2)
	v_add_f64 v[99:100], v[99:100], v[101:102]
	v_fma_f64 v[101:102], v[176:177], s[0:1], v[216:217]
	v_add_f64 v[99:100], v[116:117], v[99:100]
	s_delay_alu instid0(VALU_DEP_2) | instskip(SKIP_1) | instid1(VALU_DEP_1)
	v_add_f64 v[101:102], v[101:102], v[118:119]
	v_fma_f64 v[116:117], v[152:153], s[30:31], v[220:221]
	v_add_f64 v[101:102], v[116:117], v[101:102]
	v_fma_f64 v[116:117], v[166:167], s[18:19], v[222:223]
	s_delay_alu instid0(VALU_DEP_1) | instskip(SKIP_1) | instid1(VALU_DEP_1)
	v_add_f64 v[99:100], v[116:117], v[99:100]
	v_fma_f64 v[116:117], v[188:189], s[28:29], v[224:225]
	v_add_f64 v[101:102], v[116:117], v[101:102]
	v_fma_f64 v[116:117], v[194:195], s[24:25], v[226:227]
	s_delay_alu instid0(VALU_DEP_1) | instskip(SKIP_1) | instid1(VALU_DEP_1)
	;; [unrolled: 5-line block ×3, first 2 shown]
	v_add_f64 v[116:117], v[116:117], v[120:121]
	v_mul_f64 v[120:121], v[174:175], s[16:17]
	v_fma_f64 v[118:119], v[176:177], s[12:13], v[120:121]
	v_fma_f64 v[60:61], v[176:177], s[30:31], v[120:121]
	;; [unrolled: 1-line block ×4, first 2 shown]
	s_delay_alu instid0(VALU_DEP_4)
	v_add_f64 v[118:119], v[118:119], v[142:143]
	v_mul_f64 v[142:143], v[180:181], s[8:9]
	v_add_f64 v[60:61], v[60:61], v[150:151]
	v_add_f64 v[103:104], v[120:121], v[126:127]
	;; [unrolled: 1-line block ×3, first 2 shown]
	v_mul_f64 v[180:181], v[198:199], s[22:23]
	v_fma_f64 v[126:127], v[188:189], s[26:27], v[170:171]
	v_fma_f64 v[120:121], v[166:167], s[18:19], -v[222:223]
	v_fma_f64 v[124:125], v[166:167], s[16:17], -v[206:207]
	;; [unrolled: 1-line block ×3, first 2 shown]
	v_fma_f64 v[174:175], v[182:183], s[20:21], v[142:143]
	v_fma_f64 v[128:129], v[182:183], s[20:21], -v[142:143]
	v_fma_f64 v[142:143], v[152:153], s[26:27], v[204:205]
	v_add_f64 v[64:65], v[138:139], v[64:65]
	s_delay_alu instid0(VALU_DEP_4)
	v_add_f64 v[116:117], v[174:175], v[116:117]
	v_fma_f64 v[174:175], v[152:153], s[36:37], v[108:109]
	v_fma_f64 v[108:109], v[152:153], s[8:9], v[108:109]
	v_add_f64 v[68:69], v[128:129], v[68:69]
	v_add_f64 v[103:104], v[142:143], v[103:104]
	v_fma_f64 v[128:129], v[200:201], s[0:1], v[180:181]
	v_add_f64 v[64:65], v[140:141], v[64:65]
	v_add_f64 v[118:119], v[174:175], v[118:119]
	;; [unrolled: 3-line block ×3, first 2 shown]
	v_add_f64 v[68:69], v[120:121], v[70:71]
	v_add_f64 v[70:71], v[124:125], v[94:95]
	;; [unrolled: 1-line block ×6, first 2 shown]
	v_fma_f64 v[108:109], v[194:195], s[18:19], -v[196:197]
	v_add_f64 v[116:117], v[174:175], v[116:117]
	v_fma_f64 v[174:175], v[188:189], s[10:11], v[170:171]
	v_add_f64 v[60:61], v[126:127], v[60:61]
	v_add_f64 v[70:71], v[114:115], v[70:71]
	v_add_f64 v[72:73], v[136:137], v[94:95]
	v_add_f64 v[111:112], v[105:106], v[112:113]
	v_add_f64 v[113:114], v[120:121], v[97:98]
	v_add_f64 v[74:75], v[108:109], v[103:104]
	v_add_f64 v[118:119], v[174:175], v[118:119]
	v_mul_f64 v[174:175], v[192:193], s[0:1]
	v_add_f64 v[58:59], v[128:129], v[60:61]
	v_add_f64 v[60:61], v[78:79], v[68:69]
	v_add_nc_u32_e32 v69, 0x840, v93
	v_add_nc_u32_e32 v68, 0xc60, v93
	v_fma_f64 v[192:193], v[194:195], s[22:23], v[174:175]
	v_fma_f64 v[76:77], v[194:195], s[22:23], -v[174:175]
	s_delay_alu instid0(VALU_DEP_2) | instskip(SKIP_1) | instid1(VALU_DEP_3)
	v_add_f64 v[116:117], v[192:193], v[116:117]
	v_fma_f64 v[192:193], v[200:201], s[34:35], v[180:181]
	v_add_f64 v[56:57], v[76:77], v[66:67]
	v_add_f64 v[76:77], v[132:133], v[64:65]
	v_add_nc_u32_e32 v67, 0x1080, v93
	v_add_nc_u32_e32 v66, 0x14a0, v93
	v_add_f64 v[118:119], v[192:193], v[118:119]
	ds_store_b128 v110, v[80:83] offset:192
	ds_store_b128 v110, v[88:91] offset:288
	;; [unrolled: 1-line block ×9, first 2 shown]
	ds_store_b128 v110, v[111:114]
	ds_store_b128 v110, v[74:77] offset:960
	s_and_saveexec_b32 s33, vcc_lo
	s_cbranch_execz .LBB0_9
; %bb.8:
	scratch_load_b128 v[54:57], off, off offset:752 ; 16-byte Folded Reload
	s_waitcnt vmcnt(0)
	v_mul_f64 v[52:53], v[56:57], v[32:33]
	s_delay_alu instid0(VALU_DEP_1) | instskip(SKIP_1) | instid1(VALU_DEP_1)
	v_fma_f64 v[60:61], v[54:55], v[34:35], -v[52:53]
	v_mul_f64 v[34:35], v[56:57], v[34:35]
	v_fma_f64 v[62:63], v[54:55], v[32:33], v[34:35]
	scratch_load_b128 v[54:57], off, off offset:800 ; 16-byte Folded Reload
	v_add_f64 v[118:119], v[24:25], v[62:63]
	s_waitcnt vmcnt(0)
	v_mul_f64 v[32:33], v[56:57], v[46:47]
	s_delay_alu instid0(VALU_DEP_1)
	v_fma_f64 v[52:53], v[54:55], v[44:45], v[32:33]
	v_mul_f64 v[32:33], v[56:57], v[44:45]
	scratch_load_b128 v[56:59], off, off offset:848 ; 16-byte Folded Reload
	v_fma_f64 v[54:55], v[54:55], v[46:47], -v[32:33]
	s_waitcnt vmcnt(0)
	v_mul_f64 v[32:33], v[58:59], v[50:51]
	s_delay_alu instid0(VALU_DEP_1) | instskip(SKIP_1) | instid1(VALU_DEP_2)
	v_fma_f64 v[46:47], v[56:57], v[48:49], v[32:33]
	v_mul_f64 v[32:33], v[58:59], v[48:49]
	v_add_f64 v[154:155], v[52:53], -v[46:47]
	s_delay_alu instid0(VALU_DEP_2)
	v_fma_f64 v[48:49], v[56:57], v[50:51], -v[32:33]
	scratch_load_b128 v[56:59], off, off offset:768 ; 16-byte Folded Reload
	v_add_f64 v[162:163], v[52:53], v[46:47]
	v_mul_f64 v[158:159], v[154:155], s[0:1]
	v_add_f64 v[160:161], v[54:55], -v[48:49]
	v_add_f64 v[156:157], v[54:55], v[48:49]
	v_mul_f64 v[178:179], v[154:155], s[8:9]
	s_delay_alu instid0(VALU_DEP_3) | instskip(SKIP_3) | instid1(VALU_DEP_1)
	v_mul_f64 v[164:165], v[160:161], s[0:1]
	v_mul_f64 v[180:181], v[160:161], s[8:9]
	s_waitcnt vmcnt(0)
	v_mul_f64 v[32:33], v[58:59], v[38:39]
	v_fma_f64 v[50:51], v[56:57], v[36:37], v[32:33]
	v_mul_f64 v[32:33], v[58:59], v[36:37]
	s_clause 0x1
	scratch_load_b128 v[34:37], off, off offset:832
	scratch_load_b128 v[70:73], off, off offset:48
	v_fma_f64 v[56:57], v[56:57], v[38:39], -v[32:33]
	s_waitcnt vmcnt(0)
	v_mul_f64 v[32:33], v[36:37], v[72:73]
	s_delay_alu instid0(VALU_DEP_1) | instskip(SKIP_1) | instid1(VALU_DEP_2)
	v_fma_f64 v[38:39], v[34:35], v[70:71], v[32:33]
	v_mul_f64 v[32:33], v[36:37], v[70:71]
	v_add_f64 v[138:139], v[50:51], -v[38:39]
	s_delay_alu instid0(VALU_DEP_2)
	v_fma_f64 v[44:45], v[34:35], v[72:73], -v[32:33]
	s_clause 0x2
	scratch_load_b128 v[34:37], off, off offset:736
	scratch_load_b128 v[70:73], off, off offset:784
	;; [unrolled: 1-line block ×3, first 2 shown]
	v_add_f64 v[148:149], v[50:51], v[38:39]
	v_add_f64 v[140:141], v[56:57], v[44:45]
	s_waitcnt vmcnt(2)
	v_mul_f64 v[32:33], v[36:37], v[42:43]
	s_delay_alu instid0(VALU_DEP_1) | instskip(SKIP_1) | instid1(VALU_DEP_1)
	v_fma_f64 v[58:59], v[34:35], v[40:41], v[32:33]
	v_mul_f64 v[32:33], v[36:37], v[40:41]
	v_fma_f64 v[42:43], v[34:35], v[42:43], -v[32:33]
	s_waitcnt vmcnt(0)
	v_mul_f64 v[32:33], v[72:73], v[76:77]
	v_mul_f64 v[34:35], v[72:73], v[74:75]
	s_delay_alu instid0(VALU_DEP_2)
	v_fma_f64 v[36:37], v[70:71], v[74:75], v[32:33]
	s_clause 0x1
	scratch_load_b128 v[72:75], off, off offset:816
	scratch_load_b128 v[80:83], off, off offset:16
	v_fma_f64 v[40:41], v[70:71], v[76:77], -v[34:35]
	v_add_f64 v[130:131], v[58:59], -v[36:37]
	v_add_f64 v[136:137], v[58:59], v[36:37]
	s_delay_alu instid0(VALU_DEP_3) | instskip(SKIP_4) | instid1(VALU_DEP_2)
	v_add_f64 v[132:133], v[42:43], v[40:41]
	v_add_f64 v[134:135], v[42:43], -v[40:41]
	s_waitcnt vmcnt(0)
	v_mul_f64 v[32:33], v[74:75], v[82:83]
	v_mul_f64 v[34:35], v[74:75], v[80:81]
	v_fma_f64 v[32:33], v[72:73], v[80:81], v[32:33]
	s_clause 0x2
	scratch_load_b128 v[78:81], off, off offset:720
	scratch_load_b128 v[86:89], off, off offset:704
	scratch_load_b128 v[97:100], off, off
	v_fma_f64 v[34:35], v[72:73], v[82:83], -v[34:35]
	v_add_f64 v[72:73], v[62:63], -v[32:33]
	v_add_f64 v[105:106], v[62:63], v[32:33]
	s_waitcnt vmcnt(2)
	v_mul_f64 v[64:65], v[80:81], v[30:31]
	v_mul_f64 v[70:71], v[80:81], v[28:29]
	s_waitcnt vmcnt(0)
	v_mul_f64 v[74:75], v[88:89], v[99:100]
	v_mul_f64 v[76:77], v[88:89], v[97:98]
	;; [unrolled: 1-line block ×3, first 2 shown]
	v_fma_f64 v[64:65], v[78:79], v[28:29], v[64:65]
	v_fma_f64 v[82:83], v[78:79], v[30:31], -v[70:71]
	v_add_f64 v[28:29], v[60:61], v[34:35]
	v_mul_f64 v[30:31], v[72:73], s[14:15]
	v_mul_f64 v[70:71], v[72:73], s[8:9]
	;; [unrolled: 1-line block ×4, first 2 shown]
	v_fma_f64 v[84:85], v[86:87], v[97:98], v[74:75]
	v_fma_f64 v[86:87], v[86:87], v[99:100], -v[76:77]
	v_fma_f64 v[90:91], v[28:29], s[24:25], -v[80:81]
	v_fma_f64 v[74:75], v[28:29], s[18:19], v[30:31]
	v_fma_f64 v[30:31], v[28:29], s[18:19], -v[30:31]
	v_fma_f64 v[76:77], v[28:29], s[20:21], v[70:71]
	;; [unrolled: 2-line block ×4, first 2 shown]
	v_fma_f64 v[93:94], v[28:29], s[16:17], v[72:73]
	v_fma_f64 v[28:29], v[28:29], s[16:17], -v[72:73]
	v_add_f64 v[72:73], v[60:61], -v[34:35]
	v_add_f64 v[122:123], v[64:65], -v[84:85]
	v_add_f64 v[124:125], v[82:83], v[86:87]
	v_add_f64 v[126:127], v[82:83], -v[86:87]
	v_add_f64 v[128:129], v[64:65], v[84:85]
	v_add_f64 v[64:65], v[118:119], v[64:65]
	;; [unrolled: 1-line block ×9, first 2 shown]
	v_mul_f64 v[97:98], v[72:73], s[14:15]
	v_mul_f64 v[103:104], v[72:73], s[10:11]
	;; [unrolled: 1-line block ×7, first 2 shown]
	v_add_f64 v[58:59], v[64:65], v[58:59]
	v_mul_f64 v[64:65], v[122:123], s[10:11]
	v_mul_f64 v[118:119], v[126:127], s[10:11]
	v_fma_f64 v[108:109], v[105:106], s[18:19], -v[97:98]
	v_fma_f64 v[114:115], v[105:106], s[24:25], v[103:104]
	v_fma_f64 v[97:98], v[105:106], s[18:19], v[97:98]
	v_fma_f64 v[110:111], v[105:106], s[20:21], -v[99:100]
	v_fma_f64 v[99:100], v[105:106], s[20:21], v[99:100]
	v_fma_f64 v[112:113], v[105:106], s[22:23], v[101:102]
	v_fma_f64 v[101:102], v[105:106], s[22:23], -v[101:102]
	v_fma_f64 v[103:104], v[105:106], s[24:25], -v[103:104]
	v_fma_f64 v[116:117], v[105:106], s[16:17], v[72:73]
	v_fma_f64 v[72:73], v[105:106], s[16:17], -v[72:73]
	v_add_f64 v[105:106], v[26:27], v[60:61]
	v_add_f64 v[60:61], v[26:27], v[74:75]
	;; [unrolled: 1-line block ×6, first 2 shown]
	v_mul_f64 v[28:29], v[122:123], s[30:31]
	v_add_f64 v[74:75], v[24:25], v[97:98]
	v_add_f64 v[97:98], v[24:25], v[110:111]
	;; [unrolled: 1-line block ×10, first 2 shown]
	v_fma_f64 v[105:106], v[124:125], s[24:25], v[64:65]
	v_fma_f64 v[64:65], v[124:125], s[24:25], -v[64:65]
	v_add_f64 v[50:51], v[50:51], v[52:53]
	v_mul_f64 v[52:53], v[138:139], s[8:9]
	v_fma_f64 v[24:25], v[124:125], s[16:17], v[28:29]
	v_fma_f64 v[28:29], v[124:125], s[16:17], -v[28:29]
	v_add_f64 v[42:43], v[82:83], v[42:43]
	v_fma_f64 v[82:83], v[124:125], s[18:19], v[166:167]
	v_add_f64 v[64:65], v[64:65], v[114:115]
	v_add_f64 v[46:47], v[50:51], v[46:47]
	v_add_f64 v[93:94], v[105:106], v[93:94]
	v_add_f64 v[24:25], v[24:25], v[60:61]
	v_mul_f64 v[60:61], v[126:127], s[30:31]
	v_add_f64 v[28:29], v[28:29], v[30:31]
	v_add_f64 v[42:43], v[42:43], v[56:57]
	v_add_f64 v[82:83], v[82:83], v[88:89]
	v_add_f64 v[38:39], v[46:47], v[38:39]
	v_fma_f64 v[46:47], v[156:157], s[20:21], v[178:179]
	v_fma_f64 v[26:27], v[128:129], s[16:17], -v[60:61]
	v_fma_f64 v[30:31], v[128:129], s[16:17], v[60:61]
	v_add_f64 v[42:43], v[42:43], v[54:55]
	v_add_f64 v[36:37], v[38:39], v[36:37]
	v_mul_f64 v[38:39], v[160:161], s[14:15]
	v_add_f64 v[26:27], v[26:27], v[62:63]
	v_mul_f64 v[62:63], v[130:131], s[8:9]
	;; [unrolled: 2-line block ×3, first 2 shown]
	v_add_f64 v[42:43], v[42:43], v[48:49]
	s_delay_alu instid0(VALU_DEP_4) | instskip(SKIP_2) | instid1(VALU_DEP_4)
	v_fma_f64 v[72:73], v[132:133], s[20:21], v[62:63]
	v_fma_f64 v[60:61], v[132:133], s[20:21], -v[62:63]
	v_fma_f64 v[62:63], v[162:163], s[22:23], v[164:165]
	v_add_f64 v[42:43], v[42:43], v[44:45]
	s_delay_alu instid0(VALU_DEP_4) | instskip(SKIP_2) | instid1(VALU_DEP_4)
	v_add_f64 v[24:25], v[72:73], v[24:25]
	v_mul_f64 v[72:73], v[134:135], s[8:9]
	v_add_f64 v[28:29], v[60:61], v[28:29]
	v_add_f64 v[40:41], v[42:43], v[40:41]
	v_fma_f64 v[42:43], v[162:163], s[20:21], -v[180:181]
	s_delay_alu instid0(VALU_DEP_4) | instskip(SKIP_2) | instid1(VALU_DEP_3)
	v_fma_f64 v[80:81], v[136:137], s[20:21], -v[72:73]
	v_fma_f64 v[60:61], v[136:137], s[20:21], v[72:73]
	v_mul_f64 v[72:73], v[122:123], s[34:35]
	v_add_f64 v[26:27], v[80:81], v[26:27]
	v_mul_f64 v[80:81], v[138:139], s[26:27]
	s_delay_alu instid0(VALU_DEP_4) | instskip(NEXT) | instid1(VALU_DEP_2)
	v_add_f64 v[30:31], v[60:61], v[30:31]
	v_fma_f64 v[142:143], v[140:141], s[24:25], v[80:81]
	v_fma_f64 v[60:61], v[140:141], s[24:25], -v[80:81]
	s_delay_alu instid0(VALU_DEP_2) | instskip(SKIP_1) | instid1(VALU_DEP_3)
	v_add_f64 v[24:25], v[142:143], v[24:25]
	v_add_f64 v[142:143], v[56:57], -v[44:45]
	v_add_f64 v[28:29], v[60:61], v[28:29]
	v_mul_f64 v[56:57], v[134:135], s[0:1]
	v_mul_f64 v[44:45], v[154:155], s[14:15]
	s_delay_alu instid0(VALU_DEP_4) | instskip(SKIP_1) | instid1(VALU_DEP_2)
	v_mul_f64 v[150:151], v[142:143], s[26:27]
	v_mul_f64 v[48:49], v[142:143], s[8:9]
	v_fma_f64 v[60:61], v[148:149], s[24:25], v[150:151]
	v_fma_f64 v[152:153], v[148:149], s[24:25], -v[150:151]
	s_delay_alu instid0(VALU_DEP_2) | instskip(SKIP_1) | instid1(VALU_DEP_3)
	v_add_f64 v[60:61], v[60:61], v[30:31]
	v_fma_f64 v[30:31], v[156:157], s[22:23], -v[158:159]
	v_add_f64 v[152:153], v[152:153], v[26:27]
	v_fma_f64 v[26:27], v[156:157], s[22:23], v[158:159]
	v_mul_f64 v[158:159], v[154:155], s[26:27]
	s_delay_alu instid0(VALU_DEP_4)
	v_add_f64 v[30:31], v[30:31], v[28:29]
	v_add_f64 v[28:29], v[62:63], v[60:61]
	v_fma_f64 v[60:61], v[124:125], s[22:23], v[72:73]
	v_fma_f64 v[62:63], v[128:129], s[22:23], -v[74:75]
	v_fma_f64 v[72:73], v[124:125], s[22:23], -v[72:73]
	v_add_f64 v[26:27], v[26:27], v[24:25]
	v_fma_f64 v[24:25], v[162:163], s[22:23], -v[164:165]
	v_mul_f64 v[164:165], v[160:161], s[26:27]
	v_add_f64 v[60:61], v[60:61], v[76:77]
	v_mul_f64 v[76:77], v[130:131], s[12:13]
	v_add_f64 v[62:63], v[62:63], v[97:98]
	v_add_f64 v[70:71], v[72:73], v[70:71]
	v_fma_f64 v[72:73], v[128:129], s[22:23], v[74:75]
	v_add_f64 v[24:25], v[24:25], v[152:153]
	v_fma_f64 v[80:81], v[132:133], s[16:17], v[76:77]
	v_fma_f64 v[74:75], v[132:133], s[16:17], -v[76:77]
	v_fma_f64 v[76:77], v[162:163], s[24:25], v[164:165]
	v_add_f64 v[72:73], v[72:73], v[99:100]
	v_mul_f64 v[99:100], v[130:131], s[28:29]
	v_add_f64 v[60:61], v[80:81], v[60:61]
	v_mul_f64 v[80:81], v[134:135], s[12:13]
	v_add_f64 v[70:71], v[74:75], v[70:71]
	s_delay_alu instid0(VALU_DEP_2) | instskip(SKIP_3) | instid1(VALU_DEP_4)
	v_fma_f64 v[97:98], v[136:137], s[16:17], -v[80:81]
	v_fma_f64 v[74:75], v[136:137], s[16:17], v[80:81]
	v_fma_f64 v[80:81], v[132:133], s[18:19], -v[99:100]
	v_fma_f64 v[99:100], v[132:133], s[18:19], v[99:100]
	v_add_f64 v[62:63], v[97:98], v[62:63]
	v_mul_f64 v[97:98], v[138:139], s[14:15]
	v_add_f64 v[72:73], v[74:75], v[72:73]
	s_delay_alu instid0(VALU_DEP_2) | instskip(SKIP_3) | instid1(VALU_DEP_4)
	v_fma_f64 v[150:151], v[140:141], s[18:19], v[97:98]
	v_fma_f64 v[74:75], v[140:141], s[18:19], -v[97:98]
	v_mul_f64 v[97:98], v[122:123], s[8:9]
	v_fma_f64 v[122:123], v[128:129], s[18:19], -v[168:169]
	v_add_f64 v[60:61], v[150:151], v[60:61]
	v_mul_f64 v[150:151], v[142:143], s[14:15]
	v_add_f64 v[70:71], v[74:75], v[70:71]
	s_delay_alu instid0(VALU_DEP_4) | instskip(NEXT) | instid1(VALU_DEP_3)
	v_add_f64 v[88:89], v[122:123], v[101:102]
	v_fma_f64 v[74:75], v[148:149], s[18:19], v[150:151]
	v_fma_f64 v[152:153], v[148:149], s[18:19], -v[150:151]
	v_mul_f64 v[150:151], v[138:139], s[34:35]
	s_delay_alu instid0(VALU_DEP_3) | instskip(SKIP_1) | instid1(VALU_DEP_4)
	v_add_f64 v[74:75], v[74:75], v[72:73]
	v_fma_f64 v[72:73], v[156:157], s[24:25], -v[158:159]
	v_add_f64 v[152:153], v[152:153], v[62:63]
	v_fma_f64 v[62:63], v[156:157], s[24:25], v[158:159]
	v_mul_f64 v[158:159], v[154:155], s[30:31]
	s_delay_alu instid0(VALU_DEP_4)
	v_add_f64 v[72:73], v[72:73], v[70:71]
	v_add_f64 v[70:71], v[76:77], v[74:75]
	v_fma_f64 v[74:75], v[124:125], s[20:21], -v[97:98]
	v_add_f64 v[62:63], v[62:63], v[60:61]
	v_fma_f64 v[60:61], v[162:163], s[24:25], -v[164:165]
	v_mul_f64 v[164:165], v[160:161], s[30:31]
	v_fma_f64 v[97:98], v[124:125], s[20:21], v[97:98]
	v_fma_f64 v[105:106], v[156:157], s[16:17], v[158:159]
	v_add_f64 v[74:75], v[74:75], v[90:91]
	v_mul_f64 v[90:91], v[126:127], s[8:9]
	v_add_f64 v[60:61], v[60:61], v[152:153]
	v_mul_f64 v[152:153], v[142:143], s[34:35]
	v_mul_f64 v[126:127], v[130:131], s[0:1]
	v_add_f64 v[97:98], v[97:98], v[112:113]
	v_fma_f64 v[112:113], v[156:157], s[18:19], v[44:45]
	v_fma_f64 v[44:45], v[156:157], s[18:19], -v[44:45]
	v_add_f64 v[74:75], v[80:81], v[74:75]
	v_fma_f64 v[76:77], v[128:129], s[20:21], v[90:91]
	v_fma_f64 v[90:91], v[128:129], s[20:21], -v[90:91]
	s_delay_alu instid0(VALU_DEP_2) | instskip(SKIP_1) | instid1(VALU_DEP_3)
	v_add_f64 v[76:77], v[76:77], v[108:109]
	v_mul_f64 v[108:109], v[134:135], s[28:29]
	v_add_f64 v[90:91], v[90:91], v[103:104]
	s_delay_alu instid0(VALU_DEP_2) | instskip(SKIP_1) | instid1(VALU_DEP_2)
	v_fma_f64 v[80:81], v[136:137], s[18:19], v[108:109]
	v_fma_f64 v[108:109], v[136:137], s[18:19], -v[108:109]
	v_add_f64 v[76:77], v[80:81], v[76:77]
	v_fma_f64 v[80:81], v[140:141], s[22:23], -v[150:151]
	s_delay_alu instid0(VALU_DEP_3) | instskip(NEXT) | instid1(VALU_DEP_2)
	v_add_f64 v[90:91], v[108:109], v[90:91]
	v_add_f64 v[74:75], v[80:81], v[74:75]
	v_fma_f64 v[80:81], v[148:149], s[22:23], v[152:153]
	s_delay_alu instid0(VALU_DEP_1) | instskip(SKIP_1) | instid1(VALU_DEP_1)
	v_add_f64 v[80:81], v[80:81], v[76:77]
	v_fma_f64 v[76:77], v[156:157], s[16:17], -v[158:159]
	v_add_f64 v[76:77], v[76:77], v[74:75]
	v_fma_f64 v[74:75], v[162:163], s[16:17], v[164:165]
	s_delay_alu instid0(VALU_DEP_1) | instskip(SKIP_3) | instid1(VALU_DEP_3)
	v_add_f64 v[74:75], v[74:75], v[80:81]
	v_fma_f64 v[80:81], v[124:125], s[18:19], -v[166:167]
	v_fma_f64 v[124:125], v[128:129], s[24:25], -v[118:119]
	v_fma_f64 v[118:119], v[128:129], s[24:25], v[118:119]
	v_add_f64 v[78:79], v[80:81], v[78:79]
	v_fma_f64 v[80:81], v[128:129], s[18:19], v[168:169]
	v_fma_f64 v[128:129], v[132:133], s[22:23], v[126:127]
	v_fma_f64 v[126:127], v[132:133], s[22:23], -v[126:127]
	v_add_f64 v[101:102], v[118:119], v[116:117]
	v_add_f64 v[103:104], v[124:125], v[120:121]
	;; [unrolled: 1-line block ×3, first 2 shown]
	v_mul_f64 v[110:111], v[130:131], s[26:27]
	v_add_f64 v[64:65], v[126:127], v[64:65]
	v_fma_f64 v[130:131], v[136:137], s[22:23], -v[56:57]
	v_fma_f64 v[56:57], v[136:137], s[22:23], v[56:57]
	v_add_f64 v[93:94], v[128:129], v[93:94]
	v_fma_f64 v[170:171], v[132:133], s[24:25], -v[110:111]
	v_fma_f64 v[110:111], v[132:133], s[24:25], v[110:111]
	v_fma_f64 v[132:133], v[140:141], s[22:23], v[150:151]
	v_add_f64 v[56:57], v[56:57], v[101:102]
	v_fma_f64 v[101:102], v[162:163], s[18:19], -v[38:39]
	v_add_f64 v[78:79], v[170:171], v[78:79]
	v_mul_f64 v[170:171], v[134:135], s[26:27]
	v_fma_f64 v[134:135], v[140:141], s[20:21], v[52:53]
	v_fma_f64 v[52:53], v[140:141], s[20:21], -v[52:53]
	v_add_f64 v[82:83], v[110:111], v[82:83]
	s_delay_alu instid0(VALU_DEP_4) | instskip(SKIP_1) | instid1(VALU_DEP_4)
	v_fma_f64 v[172:173], v[136:137], s[24:25], v[170:171]
	v_fma_f64 v[58:59], v[136:137], s[24:25], -v[170:171]
	v_add_f64 v[52:53], v[52:53], v[64:65]
	v_add_f64 v[64:65], v[36:37], v[84:85]
	v_fma_f64 v[136:137], v[148:149], s[22:23], -v[152:153]
	v_add_f64 v[80:81], v[172:173], v[80:81]
	v_mul_f64 v[172:173], v[138:139], s[12:13]
	v_add_f64 v[58:59], v[58:59], v[88:89]
	v_add_f64 v[88:89], v[99:100], v[97:98]
	v_fma_f64 v[138:139], v[148:149], s[20:21], -v[48:49]
	v_fma_f64 v[48:49], v[148:149], s[20:21], v[48:49]
	v_add_f64 v[97:98], v[130:131], v[103:104]
	v_fma_f64 v[103:104], v[162:163], s[18:19], v[38:39]
	v_fma_f64 v[99:100], v[162:163], s[16:17], -v[164:165]
	v_add_f64 v[32:33], v[64:65], v[32:33]
	v_fma_f64 v[174:175], v[140:141], s[16:17], -v[172:173]
	v_fma_f64 v[54:55], v[140:141], s[16:17], v[172:173]
	v_add_f64 v[48:49], v[48:49], v[56:57]
	v_add_f64 v[56:57], v[40:41], v[86:87]
	;; [unrolled: 1-line block ×4, first 2 shown]
	v_mul_f64 v[174:175], v[142:143], s[12:13]
	v_add_f64 v[38:39], v[54:55], v[82:83]
	v_add_f64 v[54:55], v[132:133], v[88:89]
	;; [unrolled: 1-line block ×5, first 2 shown]
	v_fma_f64 v[50:51], v[148:149], s[16:17], -v[174:175]
	v_fma_f64 v[176:177], v[148:149], s[16:17], v[174:175]
	v_add_f64 v[38:39], v[46:47], v[38:39]
	v_add_f64 v[46:47], v[112:113], v[82:83]
	s_delay_alu instid0(VALU_DEP_4) | instskip(NEXT) | instid1(VALU_DEP_4)
	v_add_f64 v[50:51], v[50:51], v[58:59]
	v_add_f64 v[176:177], v[176:177], v[80:81]
	v_fma_f64 v[80:81], v[156:157], s[20:21], -v[178:179]
	v_add_f64 v[58:59], v[136:137], v[90:91]
	s_delay_alu instid0(VALU_DEP_4)
	v_add_f64 v[36:37], v[42:43], v[50:51]
	v_add_f64 v[50:51], v[44:45], v[52:53]
	s_clause 0x1
	scratch_load_b32 v52, off, off offset:360
	scratch_load_b32 v53, off, off offset:356
	v_add_f64 v[80:81], v[80:81], v[78:79]
	v_fma_f64 v[78:79], v[162:163], s[20:21], v[180:181]
	v_add_f64 v[42:43], v[105:106], v[54:55]
	v_add_f64 v[40:41], v[99:100], v[58:59]
	;; [unrolled: 1-line block ×3, first 2 shown]
	s_delay_alu instid0(VALU_DEP_4) | instskip(SKIP_3) | instid1(VALU_DEP_1)
	v_add_f64 v[78:79], v[78:79], v[176:177]
	s_waitcnt vmcnt(1)
	v_mul_u32_u24_e32 v52, 0x42, v52
	s_waitcnt vmcnt(0)
	v_add_nc_u32_e32 v52, v52, v53
	scratch_load_b32 v53, off, off offset:700 ; 4-byte Folded Reload
	s_waitcnt vmcnt(0)
	v_lshl_add_u32 v52, v52, 4, v53
	ds_store_b128 v52, v[74:77] offset:192
	ds_store_b128 v52, v[78:81] offset:288
	;; [unrolled: 1-line block ×9, first 2 shown]
	ds_store_b128 v52, v[32:35]
	ds_store_b128 v52, v[44:47] offset:960
.LBB0_9:
	s_or_b32 exec_lo, exec_lo, s33
	s_waitcnt lgkmcnt(0)
	s_barrier
	buffer_gl0_inv
	ds_load_b128 v[24:27], v107 offset:9504
	ds_load_b128 v[28:31], v107 offset:10560
	;; [unrolled: 1-line block ×6, first 2 shown]
	s_clause 0x1
	scratch_load_b128 v[84:87], off, off offset:440
	scratch_load_b128 v[88:91], off, off offset:460
	ds_load_b128 v[48:51], v107 offset:14784
	ds_load_b128 v[52:55], v107 offset:15840
	s_clause 0x1
	scratch_load_b128 v[97:100], off, off offset:476
	scratch_load_b128 v[103:106], off, off offset:632
	s_mov_b32 s0, 0xe8584caa
	s_mov_b32 s1, 0xbfebb67a
	s_mov_b32 s9, 0x3febb67a
	s_mov_b32 s8, s0
	s_mul_hi_u32 s10, s4, 0xc60
	scratch_load_b128 v[112:115], off, off offset:684 ; 16-byte Folded Reload
	s_waitcnt lgkmcnt(7)
	v_mul_f64 v[56:57], v[146:147], v[26:27]
	v_mul_f64 v[58:59], v[146:147], v[24:25]
	s_waitcnt lgkmcnt(6)
	v_mul_f64 v[60:61], v[146:147], v[30:31]
	v_mul_f64 v[62:63], v[146:147], v[28:29]
	s_delay_alu instid0(VALU_DEP_4) | instskip(NEXT) | instid1(VALU_DEP_4)
	v_fma_f64 v[76:77], v[144:145], v[24:25], v[56:57]
	v_fma_f64 v[78:79], v[144:145], v[26:27], -v[58:59]
	ds_load_b128 v[24:27], v107 offset:16896
	v_fma_f64 v[80:81], v[144:145], v[28:29], v[60:61]
	v_fma_f64 v[82:83], v[144:145], v[30:31], -v[62:63]
	ds_load_b128 v[28:31], v107 offset:17952
	s_waitcnt vmcnt(4) lgkmcnt(7)
	v_mul_f64 v[64:65], v[86:87], v[34:35]
	v_mul_f64 v[70:71], v[86:87], v[32:33]
	s_waitcnt vmcnt(3) lgkmcnt(5)
	v_mul_f64 v[72:73], v[90:91], v[42:43]
	s_waitcnt vmcnt(2) lgkmcnt(4)
	v_mul_f64 v[56:57], v[99:100], v[46:47]
	v_mul_f64 v[58:59], v[99:100], v[44:45]
	scratch_load_b128 v[99:102], off, off offset:616 ; 16-byte Folded Reload
	v_mul_f64 v[74:75], v[90:91], v[40:41]
	s_waitcnt vmcnt(2) lgkmcnt(2)
	v_mul_f64 v[62:63], v[105:106], v[52:53]
	v_fma_f64 v[64:65], v[84:85], v[32:33], v[64:65]
	v_fma_f64 v[84:85], v[84:85], v[34:35], -v[70:71]
	v_mul_f64 v[34:35], v[105:106], v[54:55]
	s_waitcnt lgkmcnt(1)
	v_mul_f64 v[70:71], v[234:235], v[26:27]
	v_fma_f64 v[86:87], v[88:89], v[40:41], v[72:73]
	v_mul_f64 v[40:41], v[234:235], v[24:25]
	v_fma_f64 v[88:89], v[88:89], v[42:43], -v[74:75]
	v_fma_f64 v[90:91], v[97:98], v[44:45], v[56:57]
	v_fma_f64 v[93:94], v[97:98], v[46:47], -v[58:59]
	s_waitcnt vmcnt(1) lgkmcnt(0)
	v_mul_f64 v[42:43], v[114:115], v[30:31]
	v_mul_f64 v[72:73], v[114:115], v[28:29]
	v_fma_f64 v[105:106], v[232:233], v[24:25], v[70:71]
	v_fma_f64 v[108:109], v[232:233], v[26:27], -v[40:41]
	s_delay_alu instid0(VALU_DEP_4) | instskip(NEXT) | instid1(VALU_DEP_4)
	v_fma_f64 v[110:111], v[112:113], v[28:29], v[42:43]
	v_fma_f64 v[112:113], v[112:113], v[30:31], -v[72:73]
	s_delay_alu instid0(VALU_DEP_2) | instskip(NEXT) | instid1(VALU_DEP_2)
	v_add_f64 v[110:111], v[36:37], -v[110:111]
	v_add_f64 v[112:113], v[38:39], -v[112:113]
	s_delay_alu instid0(VALU_DEP_2) | instskip(NEXT) | instid1(VALU_DEP_2)
	v_fma_f64 v[36:37], v[36:37], 2.0, -v[110:111]
	v_fma_f64 v[38:39], v[38:39], 2.0, -v[112:113]
	s_waitcnt vmcnt(0)
	v_mul_f64 v[60:61], v[101:102], v[50:51]
	v_mul_f64 v[32:33], v[101:102], v[48:49]
	v_fma_f64 v[101:102], v[103:104], v[52:53], v[34:35]
	v_fma_f64 v[103:104], v[103:104], v[54:55], -v[62:63]
	s_delay_alu instid0(VALU_DEP_4) | instskip(NEXT) | instid1(VALU_DEP_4)
	v_fma_f64 v[97:98], v[99:100], v[48:49], v[60:61]
	v_fma_f64 v[99:100], v[99:100], v[50:51], -v[32:33]
	ds_load_b128 v[24:27], v107
	ds_load_b128 v[28:31], v107 offset:1056
	ds_load_b128 v[32:35], v107 offset:2112
	;; [unrolled: 1-line block ×7, first 2 shown]
	s_waitcnt lgkmcnt(0)
	s_barrier
	buffer_gl0_inv
	v_add_f64 v[60:61], v[24:25], -v[76:77]
	v_add_f64 v[62:63], v[26:27], -v[78:79]
	;; [unrolled: 1-line block ×16, first 2 shown]
	v_fma_f64 v[24:25], v[24:25], 2.0, -v[60:61]
	v_fma_f64 v[26:27], v[26:27], 2.0, -v[62:63]
	;; [unrolled: 1-line block ×10, first 2 shown]
	ds_store_b128 v107, v[24:27]
	ds_store_b128 v107, v[60:63] offset:1056
	ds_store_b128 v107, v[28:31] offset:2112
	;; [unrolled: 1-line block ×3, first 2 shown]
	scratch_load_b32 v24, off, off offset:540 ; 4-byte Folded Reload
	v_fma_f64 v[48:49], v[48:49], 2.0, -v[86:87]
	v_fma_f64 v[50:51], v[50:51], 2.0, -v[88:89]
	v_fma_f64 v[52:53], v[52:53], 2.0, -v[97:98]
	v_fma_f64 v[54:55], v[54:55], 2.0, -v[99:100]
	v_fma_f64 v[56:57], v[56:57], 2.0, -v[101:102]
	v_fma_f64 v[58:59], v[58:59], 2.0, -v[103:104]
	s_waitcnt vmcnt(0)
	ds_store_b128 v24, v[32:35] offset:4224
	ds_store_b128 v24, v[74:77] offset:5280
	scratch_load_b32 v24, off, off offset:580 ; 4-byte Folded Reload
	s_waitcnt vmcnt(0)
	ds_store_b128 v24, v[40:43] offset:6336
	ds_store_b128 v24, v[78:81] offset:7392
	scratch_load_b32 v24, off, off offset:544 ; 4-byte Folded Reload
	;; [unrolled: 4-line block ×6, first 2 shown]
	s_waitcnt vmcnt(0)
	ds_store_b128 v24, v[36:39] offset:16896
	ds_store_b128 v24, v[110:113] offset:17952
	s_waitcnt lgkmcnt(0)
	s_barrier
	buffer_gl0_inv
	ds_load_b128 v[24:27], v107 offset:6336
	ds_load_b128 v[28:31], v107 offset:12672
	;; [unrolled: 1-line block ×12, first 2 shown]
	s_waitcnt lgkmcnt(7)
	v_mul_f64 v[93:94], v[186:187], v[42:43]
	v_mul_f64 v[97:98], v[186:187], v[40:41]
	s_waitcnt lgkmcnt(6)
	v_mul_f64 v[99:100], v[254:255], v[46:47]
	v_mul_f64 v[64:65], v[186:187], v[26:27]
	;; [unrolled: 1-line block ×10, first 2 shown]
	s_waitcnt lgkmcnt(5)
	v_mul_f64 v[103:104], v[6:7], v[50:51]
	v_mul_f64 v[6:7], v[6:7], v[48:49]
	s_waitcnt lgkmcnt(4)
	v_mul_f64 v[105:106], v[2:3], v[54:55]
	v_mul_f64 v[2:3], v[2:3], v[52:53]
	;; [unrolled: 3-line block ×5, first 2 shown]
	v_fma_f64 v[40:41], v[184:185], v[40:41], v[93:94]
	v_fma_f64 v[42:43], v[184:185], v[42:43], -v[97:98]
	v_fma_f64 v[44:45], v[252:253], v[44:45], v[99:100]
	v_fma_f64 v[24:25], v[184:185], v[24:25], v[64:65]
	s_waitcnt lgkmcnt(0)
	v_mul_f64 v[64:65], v[18:19], v[76:77]
	v_mul_f64 v[18:19], v[18:19], v[74:75]
	v_fma_f64 v[26:27], v[184:185], v[26:27], -v[78:79]
	v_fma_f64 v[28:29], v[252:253], v[28:29], v[80:81]
	v_fma_f64 v[30:31], v[252:253], v[30:31], -v[82:83]
	v_fma_f64 v[32:33], v[4:5], v[32:33], v[84:85]
	v_fma_f64 v[36:37], v[0:1], v[36:37], v[88:89]
	v_fma_f64 v[34:35], v[4:5], v[34:35], -v[86:87]
	v_fma_f64 v[38:39], v[0:1], v[38:39], -v[90:91]
	;; [unrolled: 1-line block ×3, first 2 shown]
	v_fma_f64 v[48:49], v[4:5], v[48:49], v[103:104]
	v_fma_f64 v[50:51], v[4:5], v[50:51], -v[6:7]
	v_fma_f64 v[52:53], v[0:1], v[52:53], v[105:106]
	v_fma_f64 v[54:55], v[0:1], v[54:55], -v[2:3]
	;; [unrolled: 2-line block ×5, first 2 shown]
	ds_load_b128 v[0:3], v107
	ds_load_b128 v[4:7], v107 offset:1056
	ds_load_b128 v[8:11], v107 offset:2112
	;; [unrolled: 1-line block ×3, first 2 shown]
	v_add_f64 v[84:85], v[40:41], v[44:45]
	v_add_f64 v[130:131], v[40:41], -v[44:45]
	v_fma_f64 v[64:65], v[16:17], v[74:75], v[64:65]
	v_fma_f64 v[74:75], v[16:17], v[76:77], -v[18:19]
	ds_load_b128 v[16:19], v107 offset:4224
	ds_load_b128 v[20:23], v107 offset:5280
	v_add_f64 v[76:77], v[24:25], v[28:29]
	v_add_f64 v[78:79], v[26:27], v[30:31]
	s_waitcnt lgkmcnt(5)
	v_add_f64 v[103:104], v[0:1], v[24:25]
	v_add_f64 v[80:81], v[32:33], v[36:37]
	v_add_f64 v[105:106], v[26:27], -v[30:31]
	v_add_f64 v[82:83], v[34:35], v[38:39]
	v_add_f64 v[86:87], v[42:43], v[46:47]
	;; [unrolled: 1-line block ×3, first 2 shown]
	v_add_f64 v[108:109], v[24:25], -v[28:29]
	v_add_f64 v[88:89], v[48:49], v[52:53]
	v_add_f64 v[90:91], v[50:51], v[54:55]
	s_waitcnt lgkmcnt(4)
	v_add_f64 v[24:25], v[4:5], v[32:33]
	v_add_f64 v[110:111], v[6:7], v[34:35]
	;; [unrolled: 1-line block ×4, first 2 shown]
	s_waitcnt lgkmcnt(3)
	v_add_f64 v[112:113], v[8:9], v[40:41]
	v_add_f64 v[114:115], v[10:11], v[42:43]
	s_waitcnt lgkmcnt(2)
	v_add_f64 v[116:117], v[12:13], v[48:49]
	v_add_f64 v[118:119], v[14:15], v[50:51]
	v_add_f64 v[34:35], v[34:35], -v[38:39]
	v_add_f64 v[128:129], v[32:33], -v[36:37]
	s_waitcnt lgkmcnt(1)
	v_add_f64 v[120:121], v[16:17], v[56:57]
	v_add_f64 v[122:123], v[18:19], v[58:59]
	v_add_f64 v[50:51], v[50:51], -v[54:55]
	v_add_f64 v[132:133], v[48:49], -v[52:53]
	;; [unrolled: 1-line block ×3, first 2 shown]
	s_waitcnt lgkmcnt(0)
	v_add_f64 v[124:125], v[20:21], v[70:71]
	v_add_f64 v[126:127], v[22:23], v[72:73]
	s_barrier
	buffer_gl0_inv
	v_fma_f64 v[84:85], v[84:85], -0.5, v[8:9]
	v_add_f64 v[99:100], v[70:71], v[64:65]
	v_add_f64 v[101:102], v[72:73], v[74:75]
	v_add_f64 v[72:73], v[72:73], -v[74:75]
	v_fma_f64 v[76:77], v[76:77], -0.5, v[0:1]
	v_fma_f64 v[78:79], v[78:79], -0.5, v[2:3]
	v_add_f64 v[70:71], v[70:71], -v[64:65]
	v_fma_f64 v[32:33], v[80:81], -0.5, v[4:5]
	v_add_f64 v[80:81], v[42:43], -v[46:47]
	v_fma_f64 v[82:83], v[82:83], -0.5, v[6:7]
	v_fma_f64 v[86:87], v[86:87], -0.5, v[10:11]
	v_add_f64 v[8:9], v[103:104], v[28:29]
	v_add_f64 v[10:11], v[26:27], v[30:31]
	v_fma_f64 v[48:49], v[88:89], -0.5, v[12:13]
	v_fma_f64 v[88:89], v[90:91], -0.5, v[14:15]
	v_add_f64 v[90:91], v[56:57], -v[60:61]
	v_add_f64 v[12:13], v[24:25], v[36:37]
	v_fma_f64 v[93:94], v[93:94], -0.5, v[16:17]
	v_fma_f64 v[97:98], v[97:98], -0.5, v[18:19]
	v_add_f64 v[14:15], v[110:111], v[38:39]
	v_add_f64 v[16:17], v[112:113], v[44:45]
	;; [unrolled: 1-line block ×7, first 2 shown]
	v_mad_u64_u32 v[64:65], null, s6, v96, 0
	s_mul_i32 s6, s4, 0xc60
	v_fma_f64 v[99:100], v[99:100], -0.5, v[20:21]
	v_fma_f64 v[101:102], v[101:102], -0.5, v[22:23]
	v_add_f64 v[20:21], v[116:117], v[52:53]
	v_add_f64 v[22:23], v[118:119], v[54:55]
	v_fma_f64 v[28:29], v[105:106], s[0:1], v[76:77]
	v_fma_f64 v[30:31], v[108:109], s[8:9], v[78:79]
	v_fma_f64 v[40:41], v[34:35], s[0:1], v[32:33]
	v_fma_f64 v[24:25], v[105:106], s[8:9], v[76:77]
	v_fma_f64 v[42:43], v[128:129], s[8:9], v[82:83]
	v_fma_f64 v[26:27], v[108:109], s[0:1], v[78:79]
	v_fma_f64 v[32:33], v[34:35], s[8:9], v[32:33]
	v_fma_f64 v[34:35], v[128:129], s[0:1], v[82:83]
	v_fma_f64 v[44:45], v[80:81], s[0:1], v[84:85]
	v_fma_f64 v[46:47], v[130:131], s[8:9], v[86:87]
	v_fma_f64 v[60:61], v[50:51], s[0:1], v[48:49]
	v_fma_f64 v[62:63], v[132:133], s[8:9], v[88:89]
	v_fma_f64 v[36:37], v[80:81], s[8:9], v[84:85]
	v_fma_f64 v[38:39], v[130:131], s[0:1], v[86:87]
	v_fma_f64 v[48:49], v[50:51], s[8:9], v[48:49]
	v_fma_f64 v[50:51], v[132:133], s[0:1], v[88:89]
	v_fma_f64 v[56:57], v[58:59], s[0:1], v[93:94]
	v_fma_f64 v[52:53], v[58:59], s[8:9], v[93:94]
	v_fma_f64 v[58:59], v[90:91], s[8:9], v[97:98]
	v_fma_f64 v[54:55], v[90:91], s[0:1], v[97:98]
	v_fma_f64 v[76:77], v[72:73], s[0:1], v[99:100]
	v_fma_f64 v[78:79], v[70:71], s[8:9], v[101:102]
	v_fma_f64 v[72:73], v[72:73], s[8:9], v[99:100]
	v_fma_f64 v[74:75], v[70:71], s[0:1], v[101:102]
	v_mad_u64_u32 v[70:71], null, s4, v230, 0
	ds_store_b128 v107, v[8:11]
	ds_store_b128 v107, v[12:15] offset:1056
	ds_store_b128 v107, v[16:19] offset:6336
	;; [unrolled: 1-line block ×17, first 2 shown]
	v_dual_mov_b32 v0, v65 :: v_dual_mov_b32 v1, v71
	s_waitcnt lgkmcnt(0)
	s_barrier
	buffer_gl0_inv
	ds_load_b128 v[2:5], v107 offset:6336
	ds_load_b128 v[6:9], v107 offset:12672
	v_mad_u64_u32 v[34:35], null, s7, v96, v[0:1]
	ds_load_b128 v[10:13], v107 offset:7392
	ds_load_b128 v[14:17], v107 offset:13728
	;; [unrolled: 1-line block ×6, first 2 shown]
	s_mul_i32 s7, s5, 0xc60
	v_mov_b32_e32 v65, v34
	ds_load_b128 v[34:37], v107 offset:10560
	ds_load_b128 v[38:41], v107 offset:11616
	;; [unrolled: 1-line block ×4, first 2 shown]
	s_clause 0x4
	scratch_load_b128 v[112:115], off, off offset:508
	scratch_load_b128 v[108:111], off, off offset:492
	;; [unrolled: 1-line block ×5, first 2 shown]
	s_waitcnt lgkmcnt(11)
	v_mad_u64_u32 v[50:51], null, s5, v230, v[1:2]
	v_lshlrev_b64 v[0:1], 4, v[64:65]
	s_waitcnt lgkmcnt(3)
	v_mul_f64 v[92:93], v[242:243], v[36:37]
	v_mul_f64 v[94:95], v[242:243], v[34:35]
	s_waitcnt lgkmcnt(1)
	v_mul_f64 v[96:97], v[238:239], v[44:45]
	v_mul_f64 v[98:99], v[238:239], v[42:43]
	;; [unrolled: 1-line block ×3, first 2 shown]
	s_waitcnt lgkmcnt(0)
	v_mul_f64 v[100:101], v[250:251], v[48:49]
	v_mul_f64 v[102:103], v[246:247], v[38:39]
	;; [unrolled: 1-line block ×3, first 2 shown]
	v_mov_b32_e32 v71, v50
	v_add_co_u32 v0, vcc_lo, s2, v0
	v_add_co_ci_u32_e32 v1, vcc_lo, s3, v1, vcc_lo
	s_delay_alu instid0(VALU_DEP_3) | instskip(SKIP_2) | instid1(SALU_CYCLE_1)
	v_lshlrev_b64 v[70:71], 4, v[70:71]
	s_add_i32 s2, s10, s7
	s_mul_i32 s3, s5, 0xffffc640
	s_sub_i32 s3, s3, s4
	s_delay_alu instid0(VALU_DEP_1) | instskip(NEXT) | instid1(VALU_DEP_2)
	v_add_co_u32 v0, vcc_lo, v0, v70
	v_add_co_ci_u32_e32 v1, vcc_lo, v1, v71, vcc_lo
	v_fma_f64 v[34:35], v[240:241], v[34:35], v[92:93]
	v_fma_f64 v[36:37], v[240:241], v[36:37], -v[94:95]
	v_fma_f64 v[42:43], v[236:237], v[42:43], v[96:97]
	v_fma_f64 v[44:45], v[236:237], v[44:45], -v[98:99]
	v_fma_f64 v[38:39], v[244:245], v[38:39], v[63:64]
	v_fma_f64 v[46:47], v[248:249], v[46:47], v[100:101]
	v_fma_f64 v[40:41], v[244:245], v[40:41], -v[102:103]
	v_fma_f64 v[48:49], v[248:249], v[48:49], -v[104:105]
	v_add_f64 v[102:103], v[34:35], v[42:43]
	v_add_f64 v[104:105], v[36:37], v[44:45]
	v_add_f64 v[140:141], v[36:37], -v[44:45]
	v_add_f64 v[142:143], v[34:35], -v[42:43]
	;; [unrolled: 1-line block ×4, first 2 shown]
	s_waitcnt vmcnt(4)
	v_mul_f64 v[51:52], v[114:115], v[4:5]
	v_mul_f64 v[53:54], v[114:115], v[2:3]
	scratch_load_b128 v[114:117], off, off offset:548 ; 16-byte Folded Reload
	s_waitcnt vmcnt(3)
	v_mul_f64 v[59:60], v[120:121], v[12:13]
	v_mul_f64 v[61:62], v[120:121], v[10:11]
	scratch_load_b128 v[120:123], off, off offset:584 ; 16-byte Folded Reload
	;; [unrolled: 4-line block ×3, first 2 shown]
	v_mul_f64 v[55:56], v[110:111], v[8:9]
	v_mul_f64 v[57:58], v[110:111], v[6:7]
	s_waitcnt vmcnt(3)
	v_mul_f64 v[84:85], v[132:133], v[28:29]
	v_mul_f64 v[86:87], v[132:133], v[26:27]
	v_add_f64 v[110:111], v[38:39], v[46:47]
	v_fma_f64 v[50:51], v[112:113], v[2:3], v[51:52]
	v_fma_f64 v[52:53], v[112:113], v[4:5], -v[53:54]
	v_add_f64 v[112:113], v[40:41], v[48:49]
	v_add_co_u32 v2, vcc_lo, v0, s6
	v_add_co_ci_u32_e32 v3, vcc_lo, s2, v1, vcc_lo
	s_delay_alu instid0(VALU_DEP_2)
	v_add_co_u32 v4, vcc_lo, v2, s6
	v_fma_f64 v[54:55], v[108:109], v[6:7], v[55:56]
	v_fma_f64 v[56:57], v[108:109], v[8:9], -v[57:58]
	v_fma_f64 v[58:59], v[118:119], v[10:11], v[59:60]
	v_fma_f64 v[60:61], v[118:119], v[12:13], -v[61:62]
	v_add_co_ci_u32_e32 v5, vcc_lo, s2, v3, vcc_lo
	v_add_co_u32 v6, vcc_lo, v4, s6
	s_delay_alu instid0(VALU_DEP_2) | instskip(NEXT) | instid1(VALU_DEP_2)
	v_add_co_ci_u32_e32 v7, vcc_lo, s2, v5, vcc_lo
	v_add_co_u32 v8, vcc_lo, v6, s6
	s_delay_alu instid0(VALU_DEP_2) | instskip(NEXT) | instid1(VALU_DEP_2)
	v_add_co_ci_u32_e32 v9, vcc_lo, s2, v7, vcc_lo
	v_add_co_u32 v108, vcc_lo, v8, s6
	s_delay_alu instid0(VALU_DEP_2)
	v_add_co_ci_u32_e32 v109, vcc_lo, s2, v9, vcc_lo
	v_add_f64 v[62:63], v[50:51], v[54:55]
	v_add_f64 v[64:65], v[52:53], v[56:57]
	v_add_f64 v[118:119], v[52:53], -v[56:57]
	s_waitcnt vmcnt(2)
	v_mul_f64 v[72:73], v[116:117], v[16:17]
	v_mul_f64 v[74:75], v[116:117], v[14:15]
	s_waitcnt vmcnt(1)
	v_mul_f64 v[80:81], v[122:123], v[24:25]
	v_mul_f64 v[82:83], v[122:123], v[22:23]
	;; [unrolled: 3-line block ×3, first 2 shown]
	v_fma_f64 v[70:71], v[114:115], v[14:15], v[72:73]
	v_fma_f64 v[72:73], v[114:115], v[16:17], -v[74:75]
	v_fma_f64 v[74:75], v[124:125], v[18:19], v[76:77]
	v_fma_f64 v[76:77], v[124:125], v[20:21], -v[78:79]
	;; [unrolled: 2-line block ×5, first 2 shown]
	ds_load_b128 v[10:13], v107
	ds_load_b128 v[14:17], v107 offset:1056
	ds_load_b128 v[18:21], v107 offset:2112
	;; [unrolled: 1-line block ×5, first 2 shown]
	v_mad_u64_u32 v[114:115], null, 0xffffc640, s4, v[108:109]
	s_delay_alu instid0(VALU_DEP_1)
	v_add_nc_u32_e32 v115, s3, v115
	s_waitcnt lgkmcnt(5)
	v_add_f64 v[116:117], v[10:11], v[50:51]
	v_add_f64 v[52:53], v[12:13], v[52:53]
	s_waitcnt lgkmcnt(4)
	v_add_f64 v[120:121], v[14:15], v[58:59]
	v_add_f64 v[122:123], v[16:17], v[60:61]
	;; [unrolled: 3-line block ×4, first 2 shown]
	v_fma_f64 v[62:63], v[62:63], -0.5, v[10:11]
	v_add_f64 v[90:91], v[58:59], v[70:71]
	v_add_f64 v[92:93], v[60:61], v[72:73]
	;; [unrolled: 1-line block ×10, first 2 shown]
	v_add_f64 v[50:51], v[50:51], -v[54:55]
	v_fma_f64 v[64:65], v[64:65], -0.5, v[12:13]
	v_add_f64 v[60:61], v[60:61], -v[72:73]
	v_add_f64 v[58:59], v[58:59], -v[70:71]
	;; [unrolled: 1-line block ×6, first 2 shown]
	v_fma_f64 v[102:103], v[102:103], -0.5, v[26:27]
	v_fma_f64 v[104:105], v[104:105], -0.5, v[28:29]
	;; [unrolled: 1-line block ×4, first 2 shown]
	v_add_f64 v[10:11], v[116:117], v[54:55]
	v_add_f64 v[12:13], v[52:53], v[56:57]
	;; [unrolled: 1-line block ×6, first 2 shown]
	v_fma_f64 v[34:35], v[118:119], s[0:1], v[62:63]
	v_fma_f64 v[90:91], v[90:91], -0.5, v[14:15]
	v_fma_f64 v[92:93], v[92:93], -0.5, v[16:17]
	v_add_f64 v[14:15], v[120:121], v[70:71]
	v_add_f64 v[16:17], v[122:123], v[72:73]
	v_fma_f64 v[94:95], v[94:95], -0.5, v[18:19]
	v_fma_f64 v[96:97], v[96:97], -0.5, v[20:21]
	v_add_f64 v[18:19], v[124:125], v[78:79]
	v_add_f64 v[20:21], v[126:127], v[80:81]
	;; [unrolled: 4-line block ×3, first 2 shown]
	v_fma_f64 v[36:37], v[50:51], s[8:9], v[64:65]
	v_fma_f64 v[38:39], v[118:119], s[8:9], v[62:63]
	;; [unrolled: 1-line block ×3, first 2 shown]
	v_add_co_u32 v86, vcc_lo, v114, s6
	v_add_co_ci_u32_e32 v87, vcc_lo, s2, v115, vcc_lo
	v_fma_f64 v[70:71], v[140:141], s[0:1], v[102:103]
	v_fma_f64 v[72:73], v[142:143], s[8:9], v[104:105]
	;; [unrolled: 1-line block ×4, first 2 shown]
	v_add_co_u32 v88, vcc_lo, v86, s6
	v_add_co_ci_u32_e32 v89, vcc_lo, s2, v87, vcc_lo
	v_fma_f64 v[42:43], v[60:61], s[0:1], v[90:91]
	v_fma_f64 v[44:45], v[58:59], s[8:9], v[92:93]
	;; [unrolled: 1-line block ×16, first 2 shown]
	ds_store_b128 v107, v[10:13]
	ds_store_b128 v107, v[14:17] offset:1056
	ds_store_b128 v107, v[18:21] offset:2112
	;; [unrolled: 1-line block ×17, first 2 shown]
	s_waitcnt lgkmcnt(0)
	s_barrier
	buffer_gl0_inv
	ds_load_b128 v[10:13], v107
	ds_load_b128 v[14:17], v107 offset:3168
	ds_load_b128 v[18:21], v107 offset:6336
	;; [unrolled: 1-line block ×17, first 2 shown]
	s_clause 0x8
	scratch_load_b128 v[214:217], off, off offset:288
	scratch_load_b128 v[200:203], off, off offset:208
	scratch_load_b128 v[196:199], off, off offset:192
	scratch_load_b128 v[170:173], off, off offset:64
	scratch_load_b128 v[176:179], off, off offset:96
	scratch_load_b128 v[186:189], off, off offset:144
	scratch_load_b128 v[182:185], off, off offset:128
	scratch_load_b128 v[208:211], off, off offset:256
	scratch_load_b128 v[192:195], off, off offset:176
	v_add_co_u32 v90, vcc_lo, v88, s6
	v_add_co_ci_u32_e32 v91, vcc_lo, s2, v89, vcc_lo
	s_mov_b32 s0, 0x2b18ff23
	s_delay_alu instid0(VALU_DEP_2) | instskip(NEXT) | instid1(VALU_DEP_2)
	v_add_co_u32 v92, vcc_lo, v90, s6
	v_add_co_ci_u32_e32 v93, vcc_lo, s2, v91, vcc_lo
	s_mov_b32 s1, 0x3f4b951e
	s_delay_alu instid0(VALU_DEP_2) | instskip(NEXT) | instid1(VALU_DEP_2)
	v_add_co_u32 v82, vcc_lo, v92, s6
	v_add_co_ci_u32_e32 v83, vcc_lo, s2, v93, vcc_lo
	s_delay_alu instid0(VALU_DEP_1) | instskip(NEXT) | instid1(VALU_DEP_1)
	v_mad_u64_u32 v[168:169], null, 0xffffc640, s4, v[82:83]
	v_add_nc_u32_e32 v169, s3, v169
	s_waitcnt vmcnt(8) lgkmcnt(4)
	v_mul_f64 v[132:133], v[216:217], v[64:65]
	v_mul_f64 v[134:135], v[216:217], v[62:63]
	scratch_load_b128 v[216:219], off, off offset:304 ; 16-byte Folded Reload
	s_waitcnt vmcnt(8)
	v_mul_f64 v[100:101], v[202:203], v[20:21]
	v_mul_f64 v[102:103], v[202:203], v[18:19]
	scratch_load_b128 v[202:205], off, off offset:224 ; 16-byte Folded Reload
	s_waitcnt vmcnt(7)
	;; [unrolled: 4-line block ×3, first 2 shown]
	v_mul_f64 v[128:129], v[188:189], v[40:41]
	v_mul_f64 v[130:131], v[188:189], v[38:39]
	scratch_load_b128 v[188:191], off, off offset:160 ; 16-byte Folded Reload
	v_mul_f64 v[96:97], v[178:179], v[16:17]
	v_mul_f64 v[98:99], v[178:179], v[14:15]
	scratch_load_b128 v[178:181], off, off offset:112 ; 16-byte Folded Reload
	s_waitcnt vmcnt(6)
	v_mul_f64 v[104:105], v[210:211], v[24:25]
	v_mul_f64 v[106:107], v[210:211], v[22:23]
	;; [unrolled: 1-line block ×4, first 2 shown]
	s_waitcnt vmcnt(5)
	v_mul_f64 v[116:117], v[194:195], v[32:33]
	v_mul_f64 v[118:119], v[194:195], v[30:31]
	v_mul_f64 v[136:137], v[184:185], v[44:45]
	v_mul_f64 v[138:139], v[184:185], v[42:43]
	scratch_load_b128 v[210:213], off, off offset:272 ; 16-byte Folded Reload
	v_fma_f64 v[62:63], v[214:215], v[62:63], v[132:133]
	v_fma_f64 v[64:65], v[214:215], v[64:65], -v[134:135]
	v_fma_f64 v[18:19], v[200:201], v[18:19], v[100:101]
	v_fma_f64 v[20:21], v[200:201], v[20:21], -v[102:103]
	;; [unrolled: 2-line block ×9, first 2 shown]
	v_mul_f64 v[18:19], v[18:19], s[0:1]
	v_mul_f64 v[20:21], v[20:21], s[0:1]
	;; [unrolled: 1-line block ×6, first 2 shown]
	v_add_co_u32 v84, vcc_lo, v168, s6
	v_mul_f64 v[14:15], v[14:15], s[0:1]
	v_mul_f64 v[16:17], v[16:17], s[0:1]
	;; [unrolled: 1-line block ×8, first 2 shown]
	v_add_co_ci_u32_e32 v85, vcc_lo, s2, v169, vcc_lo
	v_add_co_u32 v94, vcc_lo, v84, s6
	s_delay_alu instid0(VALU_DEP_2)
	v_add_co_ci_u32_e32 v95, vcc_lo, s2, v85, vcc_lo
	s_waitcnt vmcnt(5) lgkmcnt(3)
	v_mul_f64 v[156:157], v[218:219], v[68:69]
	v_mul_f64 v[158:159], v[218:219], v[66:67]
	scratch_load_b128 v[218:221], off, off offset:320 ; 16-byte Folded Reload
	s_waitcnt vmcnt(5)
	v_mul_f64 v[124:125], v[204:205], v[52:53]
	v_mul_f64 v[126:127], v[204:205], v[50:51]
	scratch_load_b128 v[204:207], off, off offset:240 ; 16-byte Folded Reload
	s_waitcnt vmcnt(5)
	v_mul_f64 v[120:121], v[174:175], v[36:37]
	v_mul_f64 v[122:123], v[174:175], v[34:35]
	s_waitcnt vmcnt(4) lgkmcnt(1)
	v_mul_f64 v[140:141], v[190:191], v[76:77]
	v_mul_f64 v[142:143], v[190:191], v[74:75]
	s_waitcnt vmcnt(3)
	v_mul_f64 v[144:145], v[180:181], v[48:49]
	v_mul_f64 v[146:147], v[180:181], v[46:47]
	s_waitcnt vmcnt(2)
	v_mul_f64 v[152:153], v[212:213], v[60:61]
	v_mul_f64 v[154:155], v[212:213], v[58:59]
	v_fma_f64 v[116:117], v[216:217], v[66:67], v[156:157]
	v_fma_f64 v[118:119], v[216:217], v[68:69], -v[158:159]
	v_fma_f64 v[50:51], v[202:203], v[50:51], v[124:125]
	v_fma_f64 v[52:53], v[202:203], v[52:53], -v[126:127]
	v_fma_f64 v[34:35], v[172:173], v[34:35], v[120:121]
	v_fma_f64 v[36:37], v[172:173], v[36:37], -v[122:123]
	v_fma_f64 v[74:75], v[188:189], v[74:75], v[140:141]
	v_fma_f64 v[76:77], v[188:189], v[76:77], -v[142:143]
	v_fma_f64 v[100:101], v[178:179], v[46:47], v[144:145]
	v_fma_f64 v[102:103], v[178:179], v[48:49], -v[146:147]
	v_mul_f64 v[46:47], v[62:63], s[0:1]
	v_mul_f64 v[48:49], v[64:65], s[0:1]
	v_fma_f64 v[110:111], v[210:211], v[58:59], v[152:153]
	v_fma_f64 v[112:113], v[210:211], v[60:61], -v[154:155]
	v_mul_f64 v[38:39], v[50:51], s[0:1]
	v_mul_f64 v[40:41], v[52:53], s[0:1]
	;; [unrolled: 1-line block ×6, first 2 shown]
	v_add_co_u32 v96, vcc_lo, v94, s6
	v_add_co_ci_u32_e32 v97, vcc_lo, s2, v95, vcc_lo
	v_mul_f64 v[58:59], v[100:101], s[0:1]
	v_mul_f64 v[60:61], v[102:103], s[0:1]
	s_delay_alu instid0(VALU_DEP_4) | instskip(NEXT) | instid1(VALU_DEP_4)
	v_add_co_u32 v98, vcc_lo, v96, s6
	v_add_co_ci_u32_e32 v99, vcc_lo, s2, v97, vcc_lo
	s_delay_alu instid0(VALU_DEP_2) | instskip(NEXT) | instid1(VALU_DEP_2)
	v_add_co_u32 v100, vcc_lo, v98, s6
	v_add_co_ci_u32_e32 v101, vcc_lo, s2, v99, vcc_lo
	v_mul_f64 v[66:67], v[110:111], s[0:1]
	v_mul_f64 v[68:69], v[112:113], s[0:1]
	s_waitcnt vmcnt(1)
	v_mul_f64 v[160:161], v[220:221], v[72:73]
	v_mul_f64 v[162:163], v[220:221], v[70:71]
	scratch_load_b128 v[220:223], off, off offset:336 ; 16-byte Folded Reload
	s_waitcnt vmcnt(1)
	v_mul_f64 v[148:149], v[206:207], v[56:57]
	v_mul_f64 v[150:151], v[206:207], v[54:55]
	v_fma_f64 v[120:121], v[218:219], v[70:71], v[160:161]
	v_fma_f64 v[122:123], v[218:219], v[72:73], -v[162:163]
	v_mul_f64 v[70:71], v[116:117], s[0:1]
	v_fma_f64 v[104:105], v[204:205], v[54:55], v[148:149]
	v_fma_f64 v[106:107], v[204:205], v[56:57], -v[150:151]
	v_mul_f64 v[54:55], v[74:75], s[0:1]
	v_mul_f64 v[56:57], v[76:77], s[0:1]
	;; [unrolled: 1-line block ×7, first 2 shown]
	s_waitcnt vmcnt(0) lgkmcnt(0)
	v_mul_f64 v[164:165], v[222:223], v[80:81]
	v_mul_f64 v[166:167], v[222:223], v[78:79]
	s_delay_alu instid0(VALU_DEP_2) | instskip(NEXT) | instid1(VALU_DEP_2)
	v_fma_f64 v[78:79], v[220:221], v[78:79], v[164:165]
	v_fma_f64 v[80:81], v[220:221], v[80:81], -v[166:167]
	s_delay_alu instid0(VALU_DEP_2) | instskip(NEXT) | instid1(VALU_DEP_2)
	v_mul_f64 v[78:79], v[78:79], s[0:1]
	v_mul_f64 v[80:81], v[80:81], s[0:1]
	s_clause 0x4
	global_store_b128 v[0:1], v[10:13], off
	global_store_b128 v[2:3], v[14:17], off
	global_store_b128 v[4:5], v[18:21], off
	global_store_b128 v[6:7], v[22:25], off
	global_store_b128 v[8:9], v[26:29], off
	global_store_b128 v[108:109], v[30:33], off
	global_store_b128 v[114:115], v[34:37], off
	global_store_b128 v[86:87], v[38:41], off
	global_store_b128 v[88:89], v[42:45], off
	global_store_b128 v[90:91], v[46:49], off
	global_store_b128 v[92:93], v[50:53], off
	global_store_b128 v[82:83], v[54:57], off
	global_store_b128 v[168:169], v[58:61], off
	global_store_b128 v[84:85], v[62:65], off
	global_store_b128 v[94:95], v[66:69], off
	global_store_b128 v[96:97], v[70:73], off
	global_store_b128 v[98:99], v[74:77], off
	global_store_b128 v[100:101], v[78:81], off
.LBB0_10:
	s_nop 0
	s_sendmsg sendmsg(MSG_DEALLOC_VGPRS)
	s_endpgm
	.section	.rodata,"a",@progbits
	.p2align	6, 0x0
	.amdhsa_kernel bluestein_single_fwd_len1188_dim1_dp_op_CI_CI
		.amdhsa_group_segment_fixed_size 57024
		.amdhsa_private_segment_fixed_size 868
		.amdhsa_kernarg_size 104
		.amdhsa_user_sgpr_count 15
		.amdhsa_user_sgpr_dispatch_ptr 0
		.amdhsa_user_sgpr_queue_ptr 0
		.amdhsa_user_sgpr_kernarg_segment_ptr 1
		.amdhsa_user_sgpr_dispatch_id 0
		.amdhsa_user_sgpr_private_segment_size 0
		.amdhsa_wavefront_size32 1
		.amdhsa_uses_dynamic_stack 0
		.amdhsa_enable_private_segment 1
		.amdhsa_system_sgpr_workgroup_id_x 1
		.amdhsa_system_sgpr_workgroup_id_y 0
		.amdhsa_system_sgpr_workgroup_id_z 0
		.amdhsa_system_sgpr_workgroup_info 0
		.amdhsa_system_vgpr_workitem_id 0
		.amdhsa_next_free_vgpr 256
		.amdhsa_next_free_sgpr 40
		.amdhsa_reserve_vcc 1
		.amdhsa_float_round_mode_32 0
		.amdhsa_float_round_mode_16_64 0
		.amdhsa_float_denorm_mode_32 3
		.amdhsa_float_denorm_mode_16_64 3
		.amdhsa_dx10_clamp 1
		.amdhsa_ieee_mode 1
		.amdhsa_fp16_overflow 0
		.amdhsa_workgroup_processor_mode 1
		.amdhsa_memory_ordered 1
		.amdhsa_forward_progress 0
		.amdhsa_shared_vgpr_count 0
		.amdhsa_exception_fp_ieee_invalid_op 0
		.amdhsa_exception_fp_denorm_src 0
		.amdhsa_exception_fp_ieee_div_zero 0
		.amdhsa_exception_fp_ieee_overflow 0
		.amdhsa_exception_fp_ieee_underflow 0
		.amdhsa_exception_fp_ieee_inexact 0
		.amdhsa_exception_int_div_zero 0
	.end_amdhsa_kernel
	.text
.Lfunc_end0:
	.size	bluestein_single_fwd_len1188_dim1_dp_op_CI_CI, .Lfunc_end0-bluestein_single_fwd_len1188_dim1_dp_op_CI_CI
                                        ; -- End function
	.section	.AMDGPU.csdata,"",@progbits
; Kernel info:
; codeLenInByte = 32172
; NumSgprs: 42
; NumVgprs: 256
; ScratchSize: 868
; MemoryBound: 0
; FloatMode: 240
; IeeeMode: 1
; LDSByteSize: 57024 bytes/workgroup (compile time only)
; SGPRBlocks: 5
; VGPRBlocks: 31
; NumSGPRsForWavesPerEU: 42
; NumVGPRsForWavesPerEU: 256
; Occupancy: 4
; WaveLimiterHint : 1
; COMPUTE_PGM_RSRC2:SCRATCH_EN: 1
; COMPUTE_PGM_RSRC2:USER_SGPR: 15
; COMPUTE_PGM_RSRC2:TRAP_HANDLER: 0
; COMPUTE_PGM_RSRC2:TGID_X_EN: 1
; COMPUTE_PGM_RSRC2:TGID_Y_EN: 0
; COMPUTE_PGM_RSRC2:TGID_Z_EN: 0
; COMPUTE_PGM_RSRC2:TIDIG_COMP_CNT: 0
	.text
	.p2alignl 7, 3214868480
	.fill 96, 4, 3214868480
	.type	__hip_cuid_fc35e88cbdd9437a,@object ; @__hip_cuid_fc35e88cbdd9437a
	.section	.bss,"aw",@nobits
	.globl	__hip_cuid_fc35e88cbdd9437a
__hip_cuid_fc35e88cbdd9437a:
	.byte	0                               ; 0x0
	.size	__hip_cuid_fc35e88cbdd9437a, 1

	.ident	"AMD clang version 19.0.0git (https://github.com/RadeonOpenCompute/llvm-project roc-6.4.0 25133 c7fe45cf4b819c5991fe208aaa96edf142730f1d)"
	.section	".note.GNU-stack","",@progbits
	.addrsig
	.addrsig_sym __hip_cuid_fc35e88cbdd9437a
	.amdgpu_metadata
---
amdhsa.kernels:
  - .args:
      - .actual_access:  read_only
        .address_space:  global
        .offset:         0
        .size:           8
        .value_kind:     global_buffer
      - .actual_access:  read_only
        .address_space:  global
        .offset:         8
        .size:           8
        .value_kind:     global_buffer
      - .actual_access:  read_only
        .address_space:  global
        .offset:         16
        .size:           8
        .value_kind:     global_buffer
      - .actual_access:  read_only
        .address_space:  global
        .offset:         24
        .size:           8
        .value_kind:     global_buffer
      - .actual_access:  read_only
        .address_space:  global
        .offset:         32
        .size:           8
        .value_kind:     global_buffer
      - .offset:         40
        .size:           8
        .value_kind:     by_value
      - .address_space:  global
        .offset:         48
        .size:           8
        .value_kind:     global_buffer
      - .address_space:  global
        .offset:         56
        .size:           8
        .value_kind:     global_buffer
      - .address_space:  global
        .offset:         64
        .size:           8
        .value_kind:     global_buffer
      - .address_space:  global
        .offset:         72
        .size:           8
        .value_kind:     global_buffer
      - .offset:         80
        .size:           4
        .value_kind:     by_value
      - .address_space:  global
        .offset:         88
        .size:           8
        .value_kind:     global_buffer
      - .address_space:  global
        .offset:         96
        .size:           8
        .value_kind:     global_buffer
    .group_segment_fixed_size: 57024
    .kernarg_segment_align: 8
    .kernarg_segment_size: 104
    .language:       OpenCL C
    .language_version:
      - 2
      - 0
    .max_flat_workgroup_size: 198
    .name:           bluestein_single_fwd_len1188_dim1_dp_op_CI_CI
    .private_segment_fixed_size: 868
    .sgpr_count:     42
    .sgpr_spill_count: 0
    .symbol:         bluestein_single_fwd_len1188_dim1_dp_op_CI_CI.kd
    .uniform_work_group_size: 1
    .uses_dynamic_stack: false
    .vgpr_count:     256
    .vgpr_spill_count: 241
    .wavefront_size: 32
    .workgroup_processor_mode: 1
amdhsa.target:   amdgcn-amd-amdhsa--gfx1100
amdhsa.version:
  - 1
  - 2
...

	.end_amdgpu_metadata
